;; amdgpu-corpus repo=pytorch/pytorch kind=compiled arch=gfx942 opt=O3
	.text
	.amdgcn_target "amdgcn-amd-amdhsa--gfx942"
	.amdhsa_code_object_version 6
	.section	.text._ZN7rocprim17ROCPRIM_304000_NS6detail28radix_sort_block_sort_kernelINS1_36wrapped_radix_sort_block_sort_configINS0_13kernel_configILj256ELj4ELj4294967295EEEiN2at4cuda3cub6detail10OpaqueTypeILi1EEEEELb1EPKiPiPKSB_PSB_NS0_19identity_decomposerEEEvT1_T2_T3_T4_jT5_jj,"axG",@progbits,_ZN7rocprim17ROCPRIM_304000_NS6detail28radix_sort_block_sort_kernelINS1_36wrapped_radix_sort_block_sort_configINS0_13kernel_configILj256ELj4ELj4294967295EEEiN2at4cuda3cub6detail10OpaqueTypeILi1EEEEELb1EPKiPiPKSB_PSB_NS0_19identity_decomposerEEEvT1_T2_T3_T4_jT5_jj,comdat
	.protected	_ZN7rocprim17ROCPRIM_304000_NS6detail28radix_sort_block_sort_kernelINS1_36wrapped_radix_sort_block_sort_configINS0_13kernel_configILj256ELj4ELj4294967295EEEiN2at4cuda3cub6detail10OpaqueTypeILi1EEEEELb1EPKiPiPKSB_PSB_NS0_19identity_decomposerEEEvT1_T2_T3_T4_jT5_jj ; -- Begin function _ZN7rocprim17ROCPRIM_304000_NS6detail28radix_sort_block_sort_kernelINS1_36wrapped_radix_sort_block_sort_configINS0_13kernel_configILj256ELj4ELj4294967295EEEiN2at4cuda3cub6detail10OpaqueTypeILi1EEEEELb1EPKiPiPKSB_PSB_NS0_19identity_decomposerEEEvT1_T2_T3_T4_jT5_jj
	.globl	_ZN7rocprim17ROCPRIM_304000_NS6detail28radix_sort_block_sort_kernelINS1_36wrapped_radix_sort_block_sort_configINS0_13kernel_configILj256ELj4ELj4294967295EEEiN2at4cuda3cub6detail10OpaqueTypeILi1EEEEELb1EPKiPiPKSB_PSB_NS0_19identity_decomposerEEEvT1_T2_T3_T4_jT5_jj
	.p2align	8
	.type	_ZN7rocprim17ROCPRIM_304000_NS6detail28radix_sort_block_sort_kernelINS1_36wrapped_radix_sort_block_sort_configINS0_13kernel_configILj256ELj4ELj4294967295EEEiN2at4cuda3cub6detail10OpaqueTypeILi1EEEEELb1EPKiPiPKSB_PSB_NS0_19identity_decomposerEEEvT1_T2_T3_T4_jT5_jj,@function
_ZN7rocprim17ROCPRIM_304000_NS6detail28radix_sort_block_sort_kernelINS1_36wrapped_radix_sort_block_sort_configINS0_13kernel_configILj256ELj4ELj4294967295EEEiN2at4cuda3cub6detail10OpaqueTypeILi1EEEEELb1EPKiPiPKSB_PSB_NS0_19identity_decomposerEEEvT1_T2_T3_T4_jT5_jj: ; @_ZN7rocprim17ROCPRIM_304000_NS6detail28radix_sort_block_sort_kernelINS1_36wrapped_radix_sort_block_sort_configINS0_13kernel_configILj256ELj4ELj4294967295EEEiN2at4cuda3cub6detail10OpaqueTypeILi1EEEEELb1EPKiPiPKSB_PSB_NS0_19identity_decomposerEEEvT1_T2_T3_T4_jT5_jj
; %bb.0:
	s_load_dword s4, s[0:1], 0x20
	s_load_dwordx8 s[36:43], s[0:1], 0x0
	s_lshl_b32 s28, s2, 10
	s_mov_b32 s29, 0
	v_and_b32_e32 v6, 0x3ff, v0
	s_waitcnt lgkmcnt(0)
	s_lshr_b32 s3, s4, 10
	s_cmp_lg_u32 s2, s3
	s_cselect_b64 s[30:31], -1, 0
	s_lshl_b64 s[34:35], s[28:29], 2
	v_mbcnt_lo_u32_b32 v1, -1, 0
	s_add_u32 s6, s36, s34
	v_mbcnt_hi_u32_b32 v10, -1, v1
	v_lshlrev_b32_e32 v8, 2, v6
	v_mov_b32_e32 v11, 0
	s_addc_u32 s7, s37, s35
	v_and_b32_e32 v12, 0x300, v8
	v_lshlrev_b32_e32 v2, 2, v10
	v_mov_b32_e32 v3, v11
	v_lshl_add_u64 v[2:3], s[6:7], 0, v[2:3]
	v_lshlrev_b32_e32 v4, 2, v12
	v_mov_b32_e32 v5, v11
	s_cmp_eq_u32 s2, s3
	v_mov_b32_e32 v13, v11
	v_lshl_add_u64 v[14:15], v[2:3], 0, v[4:5]
	v_add_u32_e32 v18, v10, v12
	s_cbranch_scc1 .LBB0_2
; %bb.1:
	s_add_u32 s2, s40, s28
	s_addc_u32 s3, s41, 0
	v_lshl_add_u64 v[16:17], s[2:3], 0, v[10:11]
	v_lshl_add_u64 v[16:17], v[16:17], 0, v[12:13]
	global_load_dword v2, v[14:15], off
	global_load_dword v3, v[14:15], off offset:256
	global_load_dword v4, v[14:15], off offset:512
	;; [unrolled: 1-line block ×3, first 2 shown]
	global_load_ubyte v1, v[16:17], off
	global_load_ubyte v34, v[16:17], off offset:64
	global_load_ubyte v35, v[16:17], off offset:128
	;; [unrolled: 1-line block ×3, first 2 shown]
	v_add_u32_e32 v17, v10, v12
	v_add_u32_e32 v7, 64, v17
	v_add_u32_e32 v9, 0x80, v17
	v_add_u32_e32 v16, 0xc0, v17
	s_sub_i32 s29, s4, s28
	s_cbranch_execz .LBB0_3
	s_branch .LBB0_17
.LBB0_2:
                                        ; implicit-def: $vgpr2_vgpr3_vgpr4_vgpr5
                                        ; implicit-def: $vgpr1
                                        ; implicit-def: $vgpr34
                                        ; implicit-def: $vgpr35
                                        ; implicit-def: $vgpr36
                                        ; implicit-def: $vgpr17
                                        ; implicit-def: $vgpr7
                                        ; implicit-def: $vgpr9
                                        ; implicit-def: $vgpr16
	s_sub_i32 s29, s4, s28
.LBB0_3:
	s_brev_b32 s4, 1
	s_mov_b32 s5, s4
	s_mov_b32 s6, s4
	;; [unrolled: 1-line block ×3, first 2 shown]
	s_waitcnt vmcnt(4)
	v_mov_b64_e32 v[2:3], s[4:5]
	v_cmp_gt_u32_e32 vcc, s29, v18
	v_mov_b64_e32 v[4:5], s[6:7]
	s_and_saveexec_b64 s[2:3], vcc
	s_cbranch_execz .LBB0_5
; %bb.4:
	global_load_dword v2, v[14:15], off
	v_bfrev_b32_e32 v3, 1
	v_mov_b32_e32 v4, v3
	v_mov_b32_e32 v5, v3
.LBB0_5:
	s_or_b64 exec, exec, s[2:3]
	v_add_u32_e32 v7, 64, v18
	v_cmp_gt_u32_e64 s[2:3], s29, v7
	s_and_saveexec_b64 s[4:5], s[2:3]
	s_cbranch_execz .LBB0_7
; %bb.6:
	global_load_dword v3, v[14:15], off offset:256
.LBB0_7:
	s_or_b64 exec, exec, s[4:5]
	v_add_u32_e32 v9, 0x80, v18
	v_cmp_gt_u32_e64 s[4:5], s29, v9
	s_and_saveexec_b64 s[6:7], s[4:5]
	s_cbranch_execz .LBB0_9
; %bb.8:
	global_load_dword v4, v[14:15], off offset:512
.LBB0_9:
	;; [unrolled: 8-line block ×3, first 2 shown]
	s_or_b64 exec, exec, s[8:9]
	s_add_u32 s8, s40, s28
	s_addc_u32 s9, s41, 0
	v_lshl_add_u64 v[14:15], s[8:9], 0, v[10:11]
	v_lshl_add_u64 v[12:13], v[14:15], 0, v[12:13]
                                        ; implicit-def: $vgpr1
	s_and_saveexec_b64 s[8:9], vcc
	s_cbranch_execnz .LBB0_54
; %bb.12:
	s_or_b64 exec, exec, s[8:9]
                                        ; implicit-def: $vgpr34
	s_and_saveexec_b64 s[8:9], s[2:3]
	s_cbranch_execnz .LBB0_55
.LBB0_13:
	s_or_b64 exec, exec, s[8:9]
                                        ; implicit-def: $vgpr35
	s_and_saveexec_b64 s[2:3], s[4:5]
	s_cbranch_execnz .LBB0_56
.LBB0_14:
	s_or_b64 exec, exec, s[2:3]
                                        ; implicit-def: $vgpr36
	s_and_saveexec_b64 s[2:3], s[6:7]
	s_cbranch_execz .LBB0_16
.LBB0_15:
	global_load_ubyte v36, v[12:13], off offset:192
.LBB0_16:
	s_or_b64 exec, exec, s[2:3]
	v_mov_b32_e32 v17, v18
.LBB0_17:
	s_load_dwordx2 s[36:37], s[0:1], 0x28
	s_waitcnt vmcnt(0)
	v_xor_b32_e32 v12, 0x7fffffff, v4
	s_load_dword s0, s[0:1], 0x3c
	v_bfe_u32 v4, v0, 10, 10
	v_bfe_u32 v0, v0, 20, 10
	v_xor_b32_e32 v37, 0x7fffffff, v5
	s_mov_b32 s26, 0
	s_waitcnt lgkmcnt(0)
	s_lshr_b32 s1, s0, 16
	s_and_b32 s0, s0, 0xffff
	v_mad_u32_u24 v0, v0, s1, v4
	v_mad_u64_u32 v[4:5], s[0:1], v0, s0, v[6:7]
	v_and_b32_e32 v0, 15, v10
	v_cmp_eq_u32_e64 s[0:1], 0, v0
	v_cmp_lt_u32_e64 s[2:3], 1, v0
	v_cmp_lt_u32_e64 s[4:5], 3, v0
	;; [unrolled: 1-line block ×3, first 2 shown]
	v_and_b32_e32 v0, 16, v10
	v_cmp_eq_u32_e64 s[8:9], 0, v0
	v_and_b32_e32 v0, 0x3c0, v6
	v_min_u32_e32 v0, 0xc0, v0
	v_or_b32_e32 v0, 63, v0
	v_lshrrev_b32_e32 v15, 6, v4
	v_cmp_eq_u32_e64 s[12:13], v0, v6
	v_add_u32_e32 v0, -1, v10
	v_and_b32_e32 v4, 64, v10
	v_cmp_lt_i32_e32 vcc, v0, v4
	s_mov_b32 s27, s26
	s_mov_b32 s40, s26
	v_cndmask_b32_e32 v0, v0, v10, vcc
	v_lshlrev_b32_e32 v19, 2, v0
	v_lshrrev_b32_e32 v0, 4, v6
	v_and_b32_e32 v20, 60, v0
	v_and_b32_e32 v0, 3, v10
	s_mov_b32 s41, s26
	v_xor_b32_e32 v2, 0x7fffffff, v2
	v_xor_b32_e32 v3, 0x7fffffff, v3
	s_add_i32 s33, s37, s36
	v_lshlrev_b32_e32 v14, 2, v8
	v_cmp_lt_u32_e64 s[10:11], 31, v10
	v_cmp_gt_u32_e64 s[14:15], 4, v6
	v_cmp_lt_u32_e64 s[16:17], 63, v6
	v_cmp_eq_u32_e64 s[18:19], 0, v10
	v_cmp_eq_u32_e64 s[20:21], 0, v6
	v_mul_i32_i24_e32 v18, -12, v6
	v_cmp_eq_u32_e64 s[22:23], 0, v0
	v_cmp_lt_u32_e64 s[24:25], 1, v0
	v_add_u32_e32 v21, -4, v20
	v_lshlrev_b32_e32 v22, 2, v17
	v_lshlrev_b32_e32 v23, 2, v7
	;; [unrolled: 1-line block ×4, first 2 shown]
	v_mov_b64_e32 v[4:5], s[26:27]
	v_mov_b64_e32 v[10:11], s[40:41]
	v_mov_b32_e32 v13, 0
	s_branch .LBB0_19
.LBB0_18:                               ;   in Loop: Header=BB0_19 Depth=1
	s_barrier
	ds_write_b32 v41, v33
	ds_write_b32 v42, v32
	;; [unrolled: 1-line block ×4, first 2 shown]
	s_waitcnt lgkmcnt(0)
	s_barrier
	ds_read_b32 v2, v22
	ds_read_b32 v3, v23
	;; [unrolled: 1-line block ×4, first 2 shown]
	s_waitcnt lgkmcnt(0)
	s_barrier
	ds_write_b8 v0, v29
	ds_write_b8 v38, v28
	;; [unrolled: 1-line block ×4, first 2 shown]
	s_waitcnt lgkmcnt(0)
	s_barrier
	ds_read_u8 v1, v17
	ds_read_u8 v34, v7
	;; [unrolled: 1-line block ×4, first 2 shown]
	s_add_i32 s37, s37, -8
	s_waitcnt lgkmcnt(0)
	s_barrier
	s_cbranch_execz .LBB0_35
.LBB0_19:                               ; =>This Inner Loop Header: Depth=1
	s_min_u32 s26, s37, 8
	v_mov_b32_e32 v33, v2
	s_lshl_b32 s26, -1, s26
	s_not_b32 s40, s26
	v_lshrrev_b32_e32 v0, s36, v33
	v_and_b32_e32 v2, s40, v0
	v_mov_b32_e32 v31, v12
	v_lshl_add_u32 v0, v2, 2, v15
	v_and_b32_e32 v12, 1, v2
	v_mov_b32_e32 v29, v1
	v_mov_b32_e32 v28, v34
	v_lshl_add_u32 v34, v0, 2, 16
	v_lshl_add_u64 v[0:1], v[12:13], 0, -1
	v_cmp_ne_u32_e32 vcc, 0, v12
	v_mov_b32_e32 v32, v3
	v_mov_b32_e32 v27, v35
	v_xor_b32_e32 v1, vcc_hi, v1
	v_xor_b32_e32 v0, vcc_lo, v0
	v_and_b32_e32 v3, exec_hi, v1
	v_and_b32_e32 v12, exec_lo, v0
	v_lshlrev_b32_e32 v1, 30, v2
	v_mov_b32_e32 v0, v13
	v_cmp_gt_i64_e32 vcc, 0, v[0:1]
	v_not_b32_e32 v0, v1
	v_ashrrev_i32_e32 v0, 31, v0
	v_xor_b32_e32 v1, vcc_hi, v0
	v_xor_b32_e32 v0, vcc_lo, v0
	v_and_b32_e32 v3, v3, v1
	v_and_b32_e32 v12, v12, v0
	v_lshlrev_b32_e32 v1, 29, v2
	v_mov_b32_e32 v0, v13
	v_cmp_gt_i64_e32 vcc, 0, v[0:1]
	v_not_b32_e32 v0, v1
	v_ashrrev_i32_e32 v0, 31, v0
	v_xor_b32_e32 v1, vcc_hi, v0
	v_xor_b32_e32 v0, vcc_lo, v0
	v_and_b32_e32 v3, v3, v1
	v_and_b32_e32 v12, v12, v0
	;; [unrolled: 9-line block ×7, first 2 shown]
	v_mbcnt_lo_u32_b32 v2, v0, 0
	v_mbcnt_hi_u32_b32 v35, v1, v2
	v_cmp_eq_u32_e32 vcc, 0, v35
	v_cmp_ne_u64_e64 s[26:27], 0, v[0:1]
	v_mov_b32_e32 v30, v37
	v_mov_b32_e32 v26, v36
	s_and_b64 s[44:45], s[26:27], vcc
	ds_write2_b64 v14, v[4:5], v[10:11] offset0:2 offset1:3
	s_waitcnt lgkmcnt(0)
	s_barrier
	s_waitcnt lgkmcnt(0)
	; wave barrier
	s_and_saveexec_b64 s[26:27], s[44:45]
	s_cbranch_execz .LBB0_21
; %bb.20:                               ;   in Loop: Header=BB0_19 Depth=1
	v_bcnt_u32_b32 v0, v0, 0
	v_bcnt_u32_b32 v0, v1, v0
	ds_write_b32 v34, v0
.LBB0_21:                               ;   in Loop: Header=BB0_19 Depth=1
	s_or_b64 exec, exec, s[26:27]
	v_lshrrev_b32_e32 v0, s36, v32
	v_and_b32_e32 v2, s40, v0
	v_lshlrev_b32_e32 v0, 2, v2
	v_add_lshl_u32 v0, v0, v15, 2
	v_and_b32_e32 v12, 1, v2
	; wave barrier
	v_add_u32_e32 v37, 16, v0
	ds_read_b32 v36, v0 offset:16
	v_lshl_add_u64 v[0:1], v[12:13], 0, -1
	v_cmp_ne_u32_e32 vcc, 0, v12
	; wave barrier
	s_nop 1
	v_xor_b32_e32 v1, vcc_hi, v1
	v_xor_b32_e32 v0, vcc_lo, v0
	v_and_b32_e32 v3, exec_hi, v1
	v_and_b32_e32 v12, exec_lo, v0
	v_lshlrev_b32_e32 v1, 30, v2
	v_mov_b32_e32 v0, v13
	v_cmp_gt_i64_e32 vcc, 0, v[0:1]
	v_not_b32_e32 v0, v1
	v_ashrrev_i32_e32 v0, 31, v0
	v_xor_b32_e32 v1, vcc_hi, v0
	v_xor_b32_e32 v0, vcc_lo, v0
	v_and_b32_e32 v3, v3, v1
	v_and_b32_e32 v12, v12, v0
	v_lshlrev_b32_e32 v1, 29, v2
	v_mov_b32_e32 v0, v13
	v_cmp_gt_i64_e32 vcc, 0, v[0:1]
	v_not_b32_e32 v0, v1
	v_ashrrev_i32_e32 v0, 31, v0
	v_xor_b32_e32 v1, vcc_hi, v0
	v_xor_b32_e32 v0, vcc_lo, v0
	v_and_b32_e32 v3, v3, v1
	v_and_b32_e32 v12, v12, v0
	v_lshlrev_b32_e32 v1, 28, v2
	v_mov_b32_e32 v0, v13
	v_cmp_gt_i64_e32 vcc, 0, v[0:1]
	v_not_b32_e32 v0, v1
	v_ashrrev_i32_e32 v0, 31, v0
	v_xor_b32_e32 v1, vcc_hi, v0
	v_xor_b32_e32 v0, vcc_lo, v0
	v_and_b32_e32 v3, v3, v1
	v_and_b32_e32 v12, v12, v0
	v_lshlrev_b32_e32 v1, 27, v2
	v_mov_b32_e32 v0, v13
	v_cmp_gt_i64_e32 vcc, 0, v[0:1]
	v_not_b32_e32 v0, v1
	v_ashrrev_i32_e32 v0, 31, v0
	v_xor_b32_e32 v1, vcc_hi, v0
	v_xor_b32_e32 v0, vcc_lo, v0
	v_and_b32_e32 v3, v3, v1
	v_and_b32_e32 v12, v12, v0
	v_lshlrev_b32_e32 v1, 26, v2
	v_mov_b32_e32 v0, v13
	v_cmp_gt_i64_e32 vcc, 0, v[0:1]
	v_not_b32_e32 v0, v1
	v_ashrrev_i32_e32 v0, 31, v0
	v_xor_b32_e32 v1, vcc_hi, v0
	v_xor_b32_e32 v0, vcc_lo, v0
	v_and_b32_e32 v3, v3, v1
	v_and_b32_e32 v12, v12, v0
	v_lshlrev_b32_e32 v1, 25, v2
	v_mov_b32_e32 v0, v13
	v_cmp_gt_i64_e32 vcc, 0, v[0:1]
	v_not_b32_e32 v0, v1
	v_ashrrev_i32_e32 v0, 31, v0
	v_xor_b32_e32 v1, vcc_hi, v0
	v_xor_b32_e32 v0, vcc_lo, v0
	v_and_b32_e32 v3, v3, v1
	v_and_b32_e32 v12, v12, v0
	v_lshlrev_b32_e32 v1, 24, v2
	v_mov_b32_e32 v0, v13
	v_cmp_gt_i64_e32 vcc, 0, v[0:1]
	v_not_b32_e32 v0, v1
	v_ashrrev_i32_e32 v0, 31, v0
	v_xor_b32_e32 v1, vcc_hi, v0
	v_xor_b32_e32 v0, vcc_lo, v0
	v_and_b32_e32 v0, v12, v0
	v_and_b32_e32 v1, v3, v1
	v_mbcnt_lo_u32_b32 v2, v0, 0
	v_mbcnt_hi_u32_b32 v38, v1, v2
	v_cmp_eq_u32_e32 vcc, 0, v38
	v_cmp_ne_u64_e64 s[26:27], 0, v[0:1]
	s_and_b64 s[44:45], s[26:27], vcc
	s_and_saveexec_b64 s[26:27], s[44:45]
	s_cbranch_execz .LBB0_23
; %bb.22:                               ;   in Loop: Header=BB0_19 Depth=1
	v_bcnt_u32_b32 v0, v0, 0
	v_bcnt_u32_b32 v0, v1, v0
	s_waitcnt lgkmcnt(0)
	v_add_u32_e32 v0, v36, v0
	ds_write_b32 v37, v0
.LBB0_23:                               ;   in Loop: Header=BB0_19 Depth=1
	s_or_b64 exec, exec, s[26:27]
	v_lshrrev_b32_e32 v0, s36, v31
	v_and_b32_e32 v2, s40, v0
	v_lshlrev_b32_e32 v0, 2, v2
	v_add_lshl_u32 v0, v0, v15, 2
	v_and_b32_e32 v12, 1, v2
	; wave barrier
	v_add_u32_e32 v40, 16, v0
	ds_read_b32 v39, v0 offset:16
	v_lshl_add_u64 v[0:1], v[12:13], 0, -1
	v_cmp_ne_u32_e32 vcc, 0, v12
	; wave barrier
	s_nop 1
	v_xor_b32_e32 v1, vcc_hi, v1
	v_xor_b32_e32 v0, vcc_lo, v0
	v_and_b32_e32 v3, exec_hi, v1
	v_and_b32_e32 v12, exec_lo, v0
	v_lshlrev_b32_e32 v1, 30, v2
	v_mov_b32_e32 v0, v13
	v_cmp_gt_i64_e32 vcc, 0, v[0:1]
	v_not_b32_e32 v0, v1
	v_ashrrev_i32_e32 v0, 31, v0
	v_xor_b32_e32 v1, vcc_hi, v0
	v_xor_b32_e32 v0, vcc_lo, v0
	v_and_b32_e32 v3, v3, v1
	v_and_b32_e32 v12, v12, v0
	v_lshlrev_b32_e32 v1, 29, v2
	v_mov_b32_e32 v0, v13
	v_cmp_gt_i64_e32 vcc, 0, v[0:1]
	v_not_b32_e32 v0, v1
	v_ashrrev_i32_e32 v0, 31, v0
	v_xor_b32_e32 v1, vcc_hi, v0
	v_xor_b32_e32 v0, vcc_lo, v0
	v_and_b32_e32 v3, v3, v1
	v_and_b32_e32 v12, v12, v0
	;; [unrolled: 9-line block ×7, first 2 shown]
	v_mbcnt_lo_u32_b32 v2, v0, 0
	v_mbcnt_hi_u32_b32 v41, v1, v2
	v_cmp_eq_u32_e32 vcc, 0, v41
	v_cmp_ne_u64_e64 s[26:27], 0, v[0:1]
	s_and_b64 s[44:45], s[26:27], vcc
	s_and_saveexec_b64 s[26:27], s[44:45]
	s_cbranch_execz .LBB0_25
; %bb.24:                               ;   in Loop: Header=BB0_19 Depth=1
	v_bcnt_u32_b32 v0, v0, 0
	v_bcnt_u32_b32 v0, v1, v0
	s_waitcnt lgkmcnt(0)
	v_add_u32_e32 v0, v39, v0
	ds_write_b32 v40, v0
.LBB0_25:                               ;   in Loop: Header=BB0_19 Depth=1
	s_or_b64 exec, exec, s[26:27]
	v_lshrrev_b32_e32 v0, s36, v30
	v_and_b32_e32 v2, s40, v0
	v_lshlrev_b32_e32 v0, 2, v2
	v_add_lshl_u32 v0, v0, v15, 2
	v_and_b32_e32 v12, 1, v2
	; wave barrier
	v_add_u32_e32 v43, 16, v0
	ds_read_b32 v42, v0 offset:16
	v_lshl_add_u64 v[0:1], v[12:13], 0, -1
	v_cmp_ne_u32_e32 vcc, 0, v12
	; wave barrier
	s_nop 1
	v_xor_b32_e32 v1, vcc_hi, v1
	v_xor_b32_e32 v0, vcc_lo, v0
	v_and_b32_e32 v3, exec_hi, v1
	v_and_b32_e32 v12, exec_lo, v0
	v_lshlrev_b32_e32 v1, 30, v2
	v_mov_b32_e32 v0, v13
	v_cmp_gt_i64_e32 vcc, 0, v[0:1]
	v_not_b32_e32 v0, v1
	v_ashrrev_i32_e32 v0, 31, v0
	v_xor_b32_e32 v1, vcc_hi, v0
	v_xor_b32_e32 v0, vcc_lo, v0
	v_and_b32_e32 v3, v3, v1
	v_and_b32_e32 v12, v12, v0
	v_lshlrev_b32_e32 v1, 29, v2
	v_mov_b32_e32 v0, v13
	v_cmp_gt_i64_e32 vcc, 0, v[0:1]
	v_not_b32_e32 v0, v1
	v_ashrrev_i32_e32 v0, 31, v0
	v_xor_b32_e32 v1, vcc_hi, v0
	v_xor_b32_e32 v0, vcc_lo, v0
	v_and_b32_e32 v3, v3, v1
	v_and_b32_e32 v12, v12, v0
	;; [unrolled: 9-line block ×7, first 2 shown]
	v_mbcnt_lo_u32_b32 v2, v0, 0
	v_mbcnt_hi_u32_b32 v12, v1, v2
	v_cmp_eq_u32_e32 vcc, 0, v12
	v_cmp_ne_u64_e64 s[26:27], 0, v[0:1]
	s_and_b64 s[40:41], s[26:27], vcc
	s_and_saveexec_b64 s[26:27], s[40:41]
	s_cbranch_execz .LBB0_27
; %bb.26:                               ;   in Loop: Header=BB0_19 Depth=1
	v_bcnt_u32_b32 v0, v0, 0
	v_bcnt_u32_b32 v0, v1, v0
	s_waitcnt lgkmcnt(0)
	v_add_u32_e32 v0, v42, v0
	ds_write_b32 v43, v0
.LBB0_27:                               ;   in Loop: Header=BB0_19 Depth=1
	s_or_b64 exec, exec, s[26:27]
	; wave barrier
	s_waitcnt lgkmcnt(0)
	s_barrier
	ds_read2_b64 v[0:3], v14 offset0:2 offset1:3
	s_waitcnt lgkmcnt(0)
	v_add_u32_e32 v44, v1, v0
	v_add3_u32 v3, v44, v2, v3
	s_nop 1
	v_mov_b32_dpp v44, v3 row_shr:1 row_mask:0xf bank_mask:0xf
	v_cndmask_b32_e64 v44, v44, 0, s[0:1]
	v_add_u32_e32 v3, v44, v3
	s_nop 1
	v_mov_b32_dpp v44, v3 row_shr:2 row_mask:0xf bank_mask:0xf
	v_cndmask_b32_e64 v44, 0, v44, s[2:3]
	v_add_u32_e32 v3, v3, v44
	;; [unrolled: 4-line block ×4, first 2 shown]
	s_nop 1
	v_mov_b32_dpp v44, v3 row_bcast:15 row_mask:0xf bank_mask:0xf
	v_cndmask_b32_e64 v44, v44, 0, s[8:9]
	v_add_u32_e32 v3, v3, v44
	s_nop 1
	v_mov_b32_dpp v44, v3 row_bcast:31 row_mask:0xf bank_mask:0xf
	v_cndmask_b32_e64 v44, 0, v44, s[10:11]
	v_add_u32_e32 v3, v3, v44
	s_and_saveexec_b64 s[26:27], s[12:13]
	s_cbranch_execz .LBB0_29
; %bb.28:                               ;   in Loop: Header=BB0_19 Depth=1
	ds_write_b32 v20, v3
.LBB0_29:                               ;   in Loop: Header=BB0_19 Depth=1
	s_or_b64 exec, exec, s[26:27]
	s_waitcnt lgkmcnt(0)
	s_barrier
	s_and_saveexec_b64 s[26:27], s[14:15]
	s_cbranch_execz .LBB0_31
; %bb.30:                               ;   in Loop: Header=BB0_19 Depth=1
	v_add_u32_e32 v44, v14, v18
	ds_read_b32 v45, v44
	s_waitcnt lgkmcnt(0)
	s_nop 0
	v_mov_b32_dpp v46, v45 row_shr:1 row_mask:0xf bank_mask:0xf
	v_cndmask_b32_e64 v46, v46, 0, s[22:23]
	v_add_u32_e32 v45, v46, v45
	s_nop 1
	v_mov_b32_dpp v46, v45 row_shr:2 row_mask:0xf bank_mask:0xf
	v_cndmask_b32_e64 v46, 0, v46, s[24:25]
	v_add_u32_e32 v45, v45, v46
	ds_write_b32 v44, v45
.LBB0_31:                               ;   in Loop: Header=BB0_19 Depth=1
	s_or_b64 exec, exec, s[26:27]
	v_mov_b32_e32 v44, 0
	s_waitcnt lgkmcnt(0)
	s_barrier
	s_and_saveexec_b64 s[26:27], s[16:17]
	s_cbranch_execz .LBB0_33
; %bb.32:                               ;   in Loop: Header=BB0_19 Depth=1
	ds_read_b32 v44, v21
.LBB0_33:                               ;   in Loop: Header=BB0_19 Depth=1
	s_or_b64 exec, exec, s[26:27]
	s_waitcnt lgkmcnt(0)
	v_add_u32_e32 v3, v44, v3
	ds_bpermute_b32 v3, v19, v3
	s_add_i32 s36, s36, 8
	s_cmp_ge_u32 s36, s33
	s_waitcnt lgkmcnt(0)
	v_cndmask_b32_e64 v3, v3, v44, s[18:19]
	v_cndmask_b32_e64 v44, v3, 0, s[20:21]
	v_add_u32_e32 v45, v44, v0
	v_add_u32_e32 v0, v45, v1
	;; [unrolled: 1-line block ×3, first 2 shown]
	ds_write2_b64 v14, v[44:45], v[0:1] offset0:2 offset1:3
	s_waitcnt lgkmcnt(0)
	s_barrier
	ds_read_b32 v0, v34
	ds_read_b32 v1, v37
	;; [unrolled: 1-line block ×4, first 2 shown]
	s_waitcnt lgkmcnt(0)
	v_add_u32_e32 v0, v0, v35
	v_add3_u32 v38, v38, v36, v1
	v_add3_u32 v39, v41, v39, v2
	;; [unrolled: 1-line block ×3, first 2 shown]
	v_lshlrev_b32_e32 v41, 2, v0
	v_lshlrev_b32_e32 v42, 2, v38
	;; [unrolled: 1-line block ×4, first 2 shown]
	s_cbranch_scc0 .LBB0_18
; %bb.34:
                                        ; implicit-def: $vgpr37
                                        ; implicit-def: $vgpr12
                                        ; implicit-def: $vgpr3
                                        ; implicit-def: $vgpr2
                                        ; implicit-def: $sgpr36
                                        ; implicit-def: $vgpr1
                                        ; implicit-def: $vgpr34
                                        ; implicit-def: $vgpr35
                                        ; implicit-def: $vgpr36
.LBB0_35:
	v_add_u32_e32 v1, v14, v18
	s_barrier
	ds_write_b32 v41, v33
	ds_write_b32 v42, v32
	;; [unrolled: 1-line block ×4, first 2 shown]
	s_waitcnt lgkmcnt(0)
	s_barrier
	ds_read2st64_b32 v[10:11], v8 offset0:4 offset1:8
	ds_read_b32 v1, v1
	ds_read_b32 v7, v8 offset:3072
	s_waitcnt lgkmcnt(0)
	s_barrier
	ds_write_b8 v0, v29
	ds_write_b8 v38, v28
	;; [unrolled: 1-line block ×4, first 2 shown]
	s_waitcnt lgkmcnt(0)
	s_barrier
	ds_read_u8 v5, v6
	ds_read_u8 v4, v6 offset:256
	ds_read_u8 v3, v6 offset:512
	ds_read_u8 v2, v6 offset:768
	v_xor_b32_e32 v12, 0x7fffffff, v10
	v_xor_b32_e32 v10, 0x7fffffff, v7
	s_add_u32 s0, s38, s34
	v_mov_b32_e32 v7, 0
	s_addc_u32 s1, s39, s35
	v_mov_b32_e32 v9, v7
	v_xor_b32_e32 v13, 0x7fffffff, v1
	v_xor_b32_e32 v11, 0x7fffffff, v11
	s_andn2_b64 vcc, exec, s[30:31]
	v_lshl_add_u64 v[0:1], s[0:1], 0, v[8:9]
	s_cbranch_vccnz .LBB0_37
; %bb.36:
	s_add_u32 s0, s42, s28
	s_addc_u32 s1, s43, 0
	v_lshl_add_u64 v[8:9], s[0:1], 0, v[6:7]
	s_mov_b64 s[4:5], -1
	global_store_dword v[0:1], v13, off
	global_store_dword v[0:1], v12, off offset:1024
	global_store_dword v[0:1], v11, off offset:2048
	;; [unrolled: 1-line block ×3, first 2 shown]
	s_waitcnt lgkmcnt(3)
	global_store_byte v[8:9], v5, off
	s_waitcnt lgkmcnt(2)
	global_store_byte v[8:9], v4, off offset:256
	s_waitcnt lgkmcnt(1)
	global_store_byte v[8:9], v3, off offset:512
	s_cbranch_execz .LBB0_38
	s_branch .LBB0_51
.LBB0_37:
	s_mov_b64 s[4:5], 0
.LBB0_38:
	v_cmp_gt_u32_e32 vcc, s29, v6
	s_and_saveexec_b64 s[0:1], vcc
	s_cbranch_execz .LBB0_40
; %bb.39:
	global_store_dword v[0:1], v13, off
.LBB0_40:
	s_or_b64 exec, exec, s[0:1]
	v_add_u32_e32 v8, 0x100, v6
	v_cmp_gt_u32_e64 s[0:1], s29, v8
	s_and_saveexec_b64 s[2:3], s[0:1]
	s_cbranch_execz .LBB0_42
; %bb.41:
	global_store_dword v[0:1], v12, off offset:1024
.LBB0_42:
	s_or_b64 exec, exec, s[2:3]
	v_add_u32_e32 v8, 0x200, v6
	v_cmp_gt_u32_e64 s[2:3], s29, v8
	s_and_saveexec_b64 s[4:5], s[2:3]
	s_cbranch_execz .LBB0_44
; %bb.43:
	global_store_dword v[0:1], v11, off offset:2048
.LBB0_44:
	;; [unrolled: 8-line block ×3, first 2 shown]
	s_or_b64 exec, exec, s[6:7]
	s_add_u32 s6, s42, s28
	s_addc_u32 s7, s43, 0
	v_lshl_add_u64 v[0:1], s[6:7], 0, v[6:7]
	s_and_saveexec_b64 s[6:7], vcc
	s_cbranch_execnz .LBB0_57
; %bb.47:
	s_or_b64 exec, exec, s[6:7]
	s_and_saveexec_b64 s[6:7], s[0:1]
	s_cbranch_execnz .LBB0_58
.LBB0_48:
	s_or_b64 exec, exec, s[6:7]
	s_and_saveexec_b64 s[0:1], s[2:3]
	s_cbranch_execz .LBB0_50
.LBB0_49:
	s_waitcnt lgkmcnt(1)
	global_store_byte v[0:1], v3, off offset:512
.LBB0_50:
	s_or_b64 exec, exec, s[0:1]
.LBB0_51:
	s_and_saveexec_b64 s[0:1], s[4:5]
	s_cbranch_execnz .LBB0_53
; %bb.52:
	s_endpgm
.LBB0_53:
	s_add_u32 s0, s42, s28
	s_addc_u32 s1, s43, 0
	v_lshl_add_u64 v[0:1], s[0:1], 0, v[6:7]
	s_waitcnt lgkmcnt(0)
	global_store_byte v[0:1], v2, off offset:768
	s_endpgm
.LBB0_54:
	global_load_ubyte v1, v[12:13], off
	s_or_b64 exec, exec, s[8:9]
                                        ; implicit-def: $vgpr34
	s_and_saveexec_b64 s[8:9], s[2:3]
	s_cbranch_execz .LBB0_13
.LBB0_55:
	global_load_ubyte v34, v[12:13], off offset:64
	s_or_b64 exec, exec, s[8:9]
                                        ; implicit-def: $vgpr35
	s_and_saveexec_b64 s[2:3], s[4:5]
	s_cbranch_execz .LBB0_14
.LBB0_56:
	global_load_ubyte v35, v[12:13], off offset:128
	s_or_b64 exec, exec, s[2:3]
                                        ; implicit-def: $vgpr36
	s_and_saveexec_b64 s[2:3], s[6:7]
	s_cbranch_execnz .LBB0_15
	s_branch .LBB0_16
.LBB0_57:
	s_waitcnt lgkmcnt(3)
	global_store_byte v[0:1], v5, off
	s_or_b64 exec, exec, s[6:7]
	s_and_saveexec_b64 s[6:7], s[0:1]
	s_cbranch_execz .LBB0_48
.LBB0_58:
	s_waitcnt lgkmcnt(2)
	global_store_byte v[0:1], v4, off offset:256
	s_or_b64 exec, exec, s[6:7]
	s_and_saveexec_b64 s[0:1], s[2:3]
	s_cbranch_execnz .LBB0_49
	s_branch .LBB0_50
	.section	.rodata,"a",@progbits
	.p2align	6, 0x0
	.amdhsa_kernel _ZN7rocprim17ROCPRIM_304000_NS6detail28radix_sort_block_sort_kernelINS1_36wrapped_radix_sort_block_sort_configINS0_13kernel_configILj256ELj4ELj4294967295EEEiN2at4cuda3cub6detail10OpaqueTypeILi1EEEEELb1EPKiPiPKSB_PSB_NS0_19identity_decomposerEEEvT1_T2_T3_T4_jT5_jj
		.amdhsa_group_segment_fixed_size 4112
		.amdhsa_private_segment_fixed_size 0
		.amdhsa_kernarg_size 304
		.amdhsa_user_sgpr_count 2
		.amdhsa_user_sgpr_dispatch_ptr 0
		.amdhsa_user_sgpr_queue_ptr 0
		.amdhsa_user_sgpr_kernarg_segment_ptr 1
		.amdhsa_user_sgpr_dispatch_id 0
		.amdhsa_user_sgpr_kernarg_preload_length 0
		.amdhsa_user_sgpr_kernarg_preload_offset 0
		.amdhsa_user_sgpr_private_segment_size 0
		.amdhsa_uses_dynamic_stack 0
		.amdhsa_enable_private_segment 0
		.amdhsa_system_sgpr_workgroup_id_x 1
		.amdhsa_system_sgpr_workgroup_id_y 0
		.amdhsa_system_sgpr_workgroup_id_z 0
		.amdhsa_system_sgpr_workgroup_info 0
		.amdhsa_system_vgpr_workitem_id 2
		.amdhsa_next_free_vgpr 47
		.amdhsa_next_free_sgpr 46
		.amdhsa_accum_offset 48
		.amdhsa_reserve_vcc 1
		.amdhsa_float_round_mode_32 0
		.amdhsa_float_round_mode_16_64 0
		.amdhsa_float_denorm_mode_32 3
		.amdhsa_float_denorm_mode_16_64 3
		.amdhsa_dx10_clamp 1
		.amdhsa_ieee_mode 1
		.amdhsa_fp16_overflow 0
		.amdhsa_tg_split 0
		.amdhsa_exception_fp_ieee_invalid_op 0
		.amdhsa_exception_fp_denorm_src 0
		.amdhsa_exception_fp_ieee_div_zero 0
		.amdhsa_exception_fp_ieee_overflow 0
		.amdhsa_exception_fp_ieee_underflow 0
		.amdhsa_exception_fp_ieee_inexact 0
		.amdhsa_exception_int_div_zero 0
	.end_amdhsa_kernel
	.section	.text._ZN7rocprim17ROCPRIM_304000_NS6detail28radix_sort_block_sort_kernelINS1_36wrapped_radix_sort_block_sort_configINS0_13kernel_configILj256ELj4ELj4294967295EEEiN2at4cuda3cub6detail10OpaqueTypeILi1EEEEELb1EPKiPiPKSB_PSB_NS0_19identity_decomposerEEEvT1_T2_T3_T4_jT5_jj,"axG",@progbits,_ZN7rocprim17ROCPRIM_304000_NS6detail28radix_sort_block_sort_kernelINS1_36wrapped_radix_sort_block_sort_configINS0_13kernel_configILj256ELj4ELj4294967295EEEiN2at4cuda3cub6detail10OpaqueTypeILi1EEEEELb1EPKiPiPKSB_PSB_NS0_19identity_decomposerEEEvT1_T2_T3_T4_jT5_jj,comdat
.Lfunc_end0:
	.size	_ZN7rocprim17ROCPRIM_304000_NS6detail28radix_sort_block_sort_kernelINS1_36wrapped_radix_sort_block_sort_configINS0_13kernel_configILj256ELj4ELj4294967295EEEiN2at4cuda3cub6detail10OpaqueTypeILi1EEEEELb1EPKiPiPKSB_PSB_NS0_19identity_decomposerEEEvT1_T2_T3_T4_jT5_jj, .Lfunc_end0-_ZN7rocprim17ROCPRIM_304000_NS6detail28radix_sort_block_sort_kernelINS1_36wrapped_radix_sort_block_sort_configINS0_13kernel_configILj256ELj4ELj4294967295EEEiN2at4cuda3cub6detail10OpaqueTypeILi1EEEEELb1EPKiPiPKSB_PSB_NS0_19identity_decomposerEEEvT1_T2_T3_T4_jT5_jj
                                        ; -- End function
	.section	.AMDGPU.csdata,"",@progbits
; Kernel info:
; codeLenInByte = 3800
; NumSgprs: 52
; NumVgprs: 47
; NumAgprs: 0
; TotalNumVgprs: 47
; ScratchSize: 0
; MemoryBound: 0
; FloatMode: 240
; IeeeMode: 1
; LDSByteSize: 4112 bytes/workgroup (compile time only)
; SGPRBlocks: 6
; VGPRBlocks: 5
; NumSGPRsForWavesPerEU: 52
; NumVGPRsForWavesPerEU: 47
; AccumOffset: 48
; Occupancy: 8
; WaveLimiterHint : 1
; COMPUTE_PGM_RSRC2:SCRATCH_EN: 0
; COMPUTE_PGM_RSRC2:USER_SGPR: 2
; COMPUTE_PGM_RSRC2:TRAP_HANDLER: 0
; COMPUTE_PGM_RSRC2:TGID_X_EN: 1
; COMPUTE_PGM_RSRC2:TGID_Y_EN: 0
; COMPUTE_PGM_RSRC2:TGID_Z_EN: 0
; COMPUTE_PGM_RSRC2:TIDIG_COMP_CNT: 2
; COMPUTE_PGM_RSRC3_GFX90A:ACCUM_OFFSET: 11
; COMPUTE_PGM_RSRC3_GFX90A:TG_SPLIT: 0
	.section	.text._ZN7rocprim17ROCPRIM_304000_NS6detail39device_merge_sort_compile_time_verifierINS1_36wrapped_merge_sort_block_sort_configINS1_28merge_sort_block_sort_configILj256ELj4ELNS0_20block_sort_algorithmE0EEEiN2at4cuda3cub6detail10OpaqueTypeILi1EEEEENS1_37wrapped_merge_sort_block_merge_configINS0_14default_configEiSC_EEEEvv,"axG",@progbits,_ZN7rocprim17ROCPRIM_304000_NS6detail39device_merge_sort_compile_time_verifierINS1_36wrapped_merge_sort_block_sort_configINS1_28merge_sort_block_sort_configILj256ELj4ELNS0_20block_sort_algorithmE0EEEiN2at4cuda3cub6detail10OpaqueTypeILi1EEEEENS1_37wrapped_merge_sort_block_merge_configINS0_14default_configEiSC_EEEEvv,comdat
	.protected	_ZN7rocprim17ROCPRIM_304000_NS6detail39device_merge_sort_compile_time_verifierINS1_36wrapped_merge_sort_block_sort_configINS1_28merge_sort_block_sort_configILj256ELj4ELNS0_20block_sort_algorithmE0EEEiN2at4cuda3cub6detail10OpaqueTypeILi1EEEEENS1_37wrapped_merge_sort_block_merge_configINS0_14default_configEiSC_EEEEvv ; -- Begin function _ZN7rocprim17ROCPRIM_304000_NS6detail39device_merge_sort_compile_time_verifierINS1_36wrapped_merge_sort_block_sort_configINS1_28merge_sort_block_sort_configILj256ELj4ELNS0_20block_sort_algorithmE0EEEiN2at4cuda3cub6detail10OpaqueTypeILi1EEEEENS1_37wrapped_merge_sort_block_merge_configINS0_14default_configEiSC_EEEEvv
	.globl	_ZN7rocprim17ROCPRIM_304000_NS6detail39device_merge_sort_compile_time_verifierINS1_36wrapped_merge_sort_block_sort_configINS1_28merge_sort_block_sort_configILj256ELj4ELNS0_20block_sort_algorithmE0EEEiN2at4cuda3cub6detail10OpaqueTypeILi1EEEEENS1_37wrapped_merge_sort_block_merge_configINS0_14default_configEiSC_EEEEvv
	.p2align	8
	.type	_ZN7rocprim17ROCPRIM_304000_NS6detail39device_merge_sort_compile_time_verifierINS1_36wrapped_merge_sort_block_sort_configINS1_28merge_sort_block_sort_configILj256ELj4ELNS0_20block_sort_algorithmE0EEEiN2at4cuda3cub6detail10OpaqueTypeILi1EEEEENS1_37wrapped_merge_sort_block_merge_configINS0_14default_configEiSC_EEEEvv,@function
_ZN7rocprim17ROCPRIM_304000_NS6detail39device_merge_sort_compile_time_verifierINS1_36wrapped_merge_sort_block_sort_configINS1_28merge_sort_block_sort_configILj256ELj4ELNS0_20block_sort_algorithmE0EEEiN2at4cuda3cub6detail10OpaqueTypeILi1EEEEENS1_37wrapped_merge_sort_block_merge_configINS0_14default_configEiSC_EEEEvv: ; @_ZN7rocprim17ROCPRIM_304000_NS6detail39device_merge_sort_compile_time_verifierINS1_36wrapped_merge_sort_block_sort_configINS1_28merge_sort_block_sort_configILj256ELj4ELNS0_20block_sort_algorithmE0EEEiN2at4cuda3cub6detail10OpaqueTypeILi1EEEEENS1_37wrapped_merge_sort_block_merge_configINS0_14default_configEiSC_EEEEvv
; %bb.0:
	s_endpgm
	.section	.rodata,"a",@progbits
	.p2align	6, 0x0
	.amdhsa_kernel _ZN7rocprim17ROCPRIM_304000_NS6detail39device_merge_sort_compile_time_verifierINS1_36wrapped_merge_sort_block_sort_configINS1_28merge_sort_block_sort_configILj256ELj4ELNS0_20block_sort_algorithmE0EEEiN2at4cuda3cub6detail10OpaqueTypeILi1EEEEENS1_37wrapped_merge_sort_block_merge_configINS0_14default_configEiSC_EEEEvv
		.amdhsa_group_segment_fixed_size 0
		.amdhsa_private_segment_fixed_size 0
		.amdhsa_kernarg_size 0
		.amdhsa_user_sgpr_count 0
		.amdhsa_user_sgpr_dispatch_ptr 0
		.amdhsa_user_sgpr_queue_ptr 0
		.amdhsa_user_sgpr_kernarg_segment_ptr 0
		.amdhsa_user_sgpr_dispatch_id 0
		.amdhsa_user_sgpr_kernarg_preload_length 0
		.amdhsa_user_sgpr_kernarg_preload_offset 0
		.amdhsa_user_sgpr_private_segment_size 0
		.amdhsa_uses_dynamic_stack 0
		.amdhsa_enable_private_segment 0
		.amdhsa_system_sgpr_workgroup_id_x 1
		.amdhsa_system_sgpr_workgroup_id_y 0
		.amdhsa_system_sgpr_workgroup_id_z 0
		.amdhsa_system_sgpr_workgroup_info 0
		.amdhsa_system_vgpr_workitem_id 0
		.amdhsa_next_free_vgpr 1
		.amdhsa_next_free_sgpr 0
		.amdhsa_accum_offset 4
		.amdhsa_reserve_vcc 0
		.amdhsa_float_round_mode_32 0
		.amdhsa_float_round_mode_16_64 0
		.amdhsa_float_denorm_mode_32 3
		.amdhsa_float_denorm_mode_16_64 3
		.amdhsa_dx10_clamp 1
		.amdhsa_ieee_mode 1
		.amdhsa_fp16_overflow 0
		.amdhsa_tg_split 0
		.amdhsa_exception_fp_ieee_invalid_op 0
		.amdhsa_exception_fp_denorm_src 0
		.amdhsa_exception_fp_ieee_div_zero 0
		.amdhsa_exception_fp_ieee_overflow 0
		.amdhsa_exception_fp_ieee_underflow 0
		.amdhsa_exception_fp_ieee_inexact 0
		.amdhsa_exception_int_div_zero 0
	.end_amdhsa_kernel
	.section	.text._ZN7rocprim17ROCPRIM_304000_NS6detail39device_merge_sort_compile_time_verifierINS1_36wrapped_merge_sort_block_sort_configINS1_28merge_sort_block_sort_configILj256ELj4ELNS0_20block_sort_algorithmE0EEEiN2at4cuda3cub6detail10OpaqueTypeILi1EEEEENS1_37wrapped_merge_sort_block_merge_configINS0_14default_configEiSC_EEEEvv,"axG",@progbits,_ZN7rocprim17ROCPRIM_304000_NS6detail39device_merge_sort_compile_time_verifierINS1_36wrapped_merge_sort_block_sort_configINS1_28merge_sort_block_sort_configILj256ELj4ELNS0_20block_sort_algorithmE0EEEiN2at4cuda3cub6detail10OpaqueTypeILi1EEEEENS1_37wrapped_merge_sort_block_merge_configINS0_14default_configEiSC_EEEEvv,comdat
.Lfunc_end1:
	.size	_ZN7rocprim17ROCPRIM_304000_NS6detail39device_merge_sort_compile_time_verifierINS1_36wrapped_merge_sort_block_sort_configINS1_28merge_sort_block_sort_configILj256ELj4ELNS0_20block_sort_algorithmE0EEEiN2at4cuda3cub6detail10OpaqueTypeILi1EEEEENS1_37wrapped_merge_sort_block_merge_configINS0_14default_configEiSC_EEEEvv, .Lfunc_end1-_ZN7rocprim17ROCPRIM_304000_NS6detail39device_merge_sort_compile_time_verifierINS1_36wrapped_merge_sort_block_sort_configINS1_28merge_sort_block_sort_configILj256ELj4ELNS0_20block_sort_algorithmE0EEEiN2at4cuda3cub6detail10OpaqueTypeILi1EEEEENS1_37wrapped_merge_sort_block_merge_configINS0_14default_configEiSC_EEEEvv
                                        ; -- End function
	.section	.AMDGPU.csdata,"",@progbits
; Kernel info:
; codeLenInByte = 4
; NumSgprs: 6
; NumVgprs: 0
; NumAgprs: 0
; TotalNumVgprs: 0
; ScratchSize: 0
; MemoryBound: 0
; FloatMode: 240
; IeeeMode: 1
; LDSByteSize: 0 bytes/workgroup (compile time only)
; SGPRBlocks: 0
; VGPRBlocks: 0
; NumSGPRsForWavesPerEU: 6
; NumVGPRsForWavesPerEU: 1
; AccumOffset: 4
; Occupancy: 8
; WaveLimiterHint : 0
; COMPUTE_PGM_RSRC2:SCRATCH_EN: 0
; COMPUTE_PGM_RSRC2:USER_SGPR: 0
; COMPUTE_PGM_RSRC2:TRAP_HANDLER: 0
; COMPUTE_PGM_RSRC2:TGID_X_EN: 1
; COMPUTE_PGM_RSRC2:TGID_Y_EN: 0
; COMPUTE_PGM_RSRC2:TGID_Z_EN: 0
; COMPUTE_PGM_RSRC2:TIDIG_COMP_CNT: 0
; COMPUTE_PGM_RSRC3_GFX90A:ACCUM_OFFSET: 0
; COMPUTE_PGM_RSRC3_GFX90A:TG_SPLIT: 0
	.section	.text._ZN7rocprim17ROCPRIM_304000_NS6detail45device_block_merge_mergepath_partition_kernelINS1_37wrapped_merge_sort_block_merge_configINS0_14default_configEiN2at4cuda3cub6detail10OpaqueTypeILi1EEEEEPijNS1_19radix_merge_compareILb1ELb0EiNS0_19identity_decomposerEEEEEvT0_T1_jPSH_T2_SH_,"axG",@progbits,_ZN7rocprim17ROCPRIM_304000_NS6detail45device_block_merge_mergepath_partition_kernelINS1_37wrapped_merge_sort_block_merge_configINS0_14default_configEiN2at4cuda3cub6detail10OpaqueTypeILi1EEEEEPijNS1_19radix_merge_compareILb1ELb0EiNS0_19identity_decomposerEEEEEvT0_T1_jPSH_T2_SH_,comdat
	.protected	_ZN7rocprim17ROCPRIM_304000_NS6detail45device_block_merge_mergepath_partition_kernelINS1_37wrapped_merge_sort_block_merge_configINS0_14default_configEiN2at4cuda3cub6detail10OpaqueTypeILi1EEEEEPijNS1_19radix_merge_compareILb1ELb0EiNS0_19identity_decomposerEEEEEvT0_T1_jPSH_T2_SH_ ; -- Begin function _ZN7rocprim17ROCPRIM_304000_NS6detail45device_block_merge_mergepath_partition_kernelINS1_37wrapped_merge_sort_block_merge_configINS0_14default_configEiN2at4cuda3cub6detail10OpaqueTypeILi1EEEEEPijNS1_19radix_merge_compareILb1ELb0EiNS0_19identity_decomposerEEEEEvT0_T1_jPSH_T2_SH_
	.globl	_ZN7rocprim17ROCPRIM_304000_NS6detail45device_block_merge_mergepath_partition_kernelINS1_37wrapped_merge_sort_block_merge_configINS0_14default_configEiN2at4cuda3cub6detail10OpaqueTypeILi1EEEEEPijNS1_19radix_merge_compareILb1ELb0EiNS0_19identity_decomposerEEEEEvT0_T1_jPSH_T2_SH_
	.p2align	8
	.type	_ZN7rocprim17ROCPRIM_304000_NS6detail45device_block_merge_mergepath_partition_kernelINS1_37wrapped_merge_sort_block_merge_configINS0_14default_configEiN2at4cuda3cub6detail10OpaqueTypeILi1EEEEEPijNS1_19radix_merge_compareILb1ELb0EiNS0_19identity_decomposerEEEEEvT0_T1_jPSH_T2_SH_,@function
_ZN7rocprim17ROCPRIM_304000_NS6detail45device_block_merge_mergepath_partition_kernelINS1_37wrapped_merge_sort_block_merge_configINS0_14default_configEiN2at4cuda3cub6detail10OpaqueTypeILi1EEEEEPijNS1_19radix_merge_compareILb1ELb0EiNS0_19identity_decomposerEEEEEvT0_T1_jPSH_T2_SH_: ; @_ZN7rocprim17ROCPRIM_304000_NS6detail45device_block_merge_mergepath_partition_kernelINS1_37wrapped_merge_sort_block_merge_configINS0_14default_configEiN2at4cuda3cub6detail10OpaqueTypeILi1EEEEEPijNS1_19radix_merge_compareILb1ELb0EiNS0_19identity_decomposerEEEEEvT0_T1_jPSH_T2_SH_
; %bb.0:
	s_load_dwordx2 s[4:5], s[0:1], 0x8
	v_lshl_or_b32 v0, s2, 7, v0
	s_waitcnt lgkmcnt(0)
	v_cmp_gt_u32_e32 vcc, s5, v0
	s_and_saveexec_b64 s[2:3], vcc
	s_cbranch_execz .LBB2_6
; %bb.1:
	s_load_dword s2, s[0:1], 0x1c
	s_waitcnt lgkmcnt(0)
	s_lshr_b32 s3, s2, 9
	s_and_b32 s3, s3, 0x7ffffe
	s_add_i32 s5, s3, -1
	s_sub_i32 s3, 0, s3
	v_and_b32_e32 v1, s3, v0
	v_and_b32_e32 v2, s5, v0
	v_lshlrev_b32_e32 v1, 10, v1
	v_lshlrev_b32_e32 v3, 10, v2
	v_min_u32_e32 v2, s4, v1
	v_add_u32_e32 v1, s2, v1
	v_min_u32_e32 v4, s4, v1
	v_add_u32_e32 v1, s2, v4
	v_min_u32_e32 v1, s4, v1
	v_sub_u32_e32 v5, v1, v2
	v_min_u32_e32 v10, v5, v3
	v_sub_u32_e32 v3, v4, v2
	v_sub_u32_e32 v1, v1, v4
	v_sub_u32_e64 v1, v10, v1 clamp
	v_min_u32_e32 v11, v10, v3
	v_cmp_lt_u32_e32 vcc, v1, v11
	s_and_saveexec_b64 s[2:3], vcc
	s_cbranch_execz .LBB2_5
; %bb.2:
	s_load_dwordx2 s[4:5], s[0:1], 0x0
	v_mov_b32_e32 v5, 0
	v_mov_b32_e32 v3, v5
	s_waitcnt lgkmcnt(0)
	v_lshl_add_u64 v[6:7], v[2:3], 2, s[4:5]
	v_lshl_add_u64 v[8:9], v[4:5], 2, s[4:5]
	s_mov_b64 s[4:5], 0
.LBB2_3:                                ; =>This Inner Loop Header: Depth=1
	v_add_u32_e32 v3, v11, v1
	v_lshrrev_b32_e32 v4, 1, v3
	v_mov_b32_e32 v13, v5
	v_xad_u32 v12, v4, -1, v10
	v_lshl_add_u64 v[14:15], v[4:5], 2, v[6:7]
	v_lshl_add_u64 v[12:13], v[12:13], 2, v[8:9]
	global_load_dword v3, v[14:15], off
	global_load_dword v16, v[12:13], off
	v_add_u32_e32 v12, 1, v4
	s_waitcnt vmcnt(0)
	v_cmp_gt_i32_e32 vcc, v16, v3
	s_nop 1
	v_cndmask_b32_e32 v11, v11, v4, vcc
	v_cndmask_b32_e32 v1, v12, v1, vcc
	v_cmp_ge_u32_e32 vcc, v1, v11
	s_or_b64 s[4:5], vcc, s[4:5]
	s_andn2_b64 exec, exec, s[4:5]
	s_cbranch_execnz .LBB2_3
; %bb.4:
	s_or_b64 exec, exec, s[4:5]
.LBB2_5:
	s_or_b64 exec, exec, s[2:3]
	s_load_dwordx2 s[0:1], s[0:1], 0x10
	v_add_u32_e32 v2, v1, v2
	v_mov_b32_e32 v1, 0
	s_waitcnt lgkmcnt(0)
	v_lshl_add_u64 v[0:1], v[0:1], 2, s[0:1]
	global_store_dword v[0:1], v2, off
.LBB2_6:
	s_endpgm
	.section	.rodata,"a",@progbits
	.p2align	6, 0x0
	.amdhsa_kernel _ZN7rocprim17ROCPRIM_304000_NS6detail45device_block_merge_mergepath_partition_kernelINS1_37wrapped_merge_sort_block_merge_configINS0_14default_configEiN2at4cuda3cub6detail10OpaqueTypeILi1EEEEEPijNS1_19radix_merge_compareILb1ELb0EiNS0_19identity_decomposerEEEEEvT0_T1_jPSH_T2_SH_
		.amdhsa_group_segment_fixed_size 0
		.amdhsa_private_segment_fixed_size 0
		.amdhsa_kernarg_size 32
		.amdhsa_user_sgpr_count 2
		.amdhsa_user_sgpr_dispatch_ptr 0
		.amdhsa_user_sgpr_queue_ptr 0
		.amdhsa_user_sgpr_kernarg_segment_ptr 1
		.amdhsa_user_sgpr_dispatch_id 0
		.amdhsa_user_sgpr_kernarg_preload_length 0
		.amdhsa_user_sgpr_kernarg_preload_offset 0
		.amdhsa_user_sgpr_private_segment_size 0
		.amdhsa_uses_dynamic_stack 0
		.amdhsa_enable_private_segment 0
		.amdhsa_system_sgpr_workgroup_id_x 1
		.amdhsa_system_sgpr_workgroup_id_y 0
		.amdhsa_system_sgpr_workgroup_id_z 0
		.amdhsa_system_sgpr_workgroup_info 0
		.amdhsa_system_vgpr_workitem_id 0
		.amdhsa_next_free_vgpr 17
		.amdhsa_next_free_sgpr 6
		.amdhsa_accum_offset 20
		.amdhsa_reserve_vcc 1
		.amdhsa_float_round_mode_32 0
		.amdhsa_float_round_mode_16_64 0
		.amdhsa_float_denorm_mode_32 3
		.amdhsa_float_denorm_mode_16_64 3
		.amdhsa_dx10_clamp 1
		.amdhsa_ieee_mode 1
		.amdhsa_fp16_overflow 0
		.amdhsa_tg_split 0
		.amdhsa_exception_fp_ieee_invalid_op 0
		.amdhsa_exception_fp_denorm_src 0
		.amdhsa_exception_fp_ieee_div_zero 0
		.amdhsa_exception_fp_ieee_overflow 0
		.amdhsa_exception_fp_ieee_underflow 0
		.amdhsa_exception_fp_ieee_inexact 0
		.amdhsa_exception_int_div_zero 0
	.end_amdhsa_kernel
	.section	.text._ZN7rocprim17ROCPRIM_304000_NS6detail45device_block_merge_mergepath_partition_kernelINS1_37wrapped_merge_sort_block_merge_configINS0_14default_configEiN2at4cuda3cub6detail10OpaqueTypeILi1EEEEEPijNS1_19radix_merge_compareILb1ELb0EiNS0_19identity_decomposerEEEEEvT0_T1_jPSH_T2_SH_,"axG",@progbits,_ZN7rocprim17ROCPRIM_304000_NS6detail45device_block_merge_mergepath_partition_kernelINS1_37wrapped_merge_sort_block_merge_configINS0_14default_configEiN2at4cuda3cub6detail10OpaqueTypeILi1EEEEEPijNS1_19radix_merge_compareILb1ELb0EiNS0_19identity_decomposerEEEEEvT0_T1_jPSH_T2_SH_,comdat
.Lfunc_end2:
	.size	_ZN7rocprim17ROCPRIM_304000_NS6detail45device_block_merge_mergepath_partition_kernelINS1_37wrapped_merge_sort_block_merge_configINS0_14default_configEiN2at4cuda3cub6detail10OpaqueTypeILi1EEEEEPijNS1_19radix_merge_compareILb1ELb0EiNS0_19identity_decomposerEEEEEvT0_T1_jPSH_T2_SH_, .Lfunc_end2-_ZN7rocprim17ROCPRIM_304000_NS6detail45device_block_merge_mergepath_partition_kernelINS1_37wrapped_merge_sort_block_merge_configINS0_14default_configEiN2at4cuda3cub6detail10OpaqueTypeILi1EEEEEPijNS1_19radix_merge_compareILb1ELb0EiNS0_19identity_decomposerEEEEEvT0_T1_jPSH_T2_SH_
                                        ; -- End function
	.section	.AMDGPU.csdata,"",@progbits
; Kernel info:
; codeLenInByte = 320
; NumSgprs: 12
; NumVgprs: 17
; NumAgprs: 0
; TotalNumVgprs: 17
; ScratchSize: 0
; MemoryBound: 0
; FloatMode: 240
; IeeeMode: 1
; LDSByteSize: 0 bytes/workgroup (compile time only)
; SGPRBlocks: 1
; VGPRBlocks: 2
; NumSGPRsForWavesPerEU: 12
; NumVGPRsForWavesPerEU: 17
; AccumOffset: 20
; Occupancy: 8
; WaveLimiterHint : 0
; COMPUTE_PGM_RSRC2:SCRATCH_EN: 0
; COMPUTE_PGM_RSRC2:USER_SGPR: 2
; COMPUTE_PGM_RSRC2:TRAP_HANDLER: 0
; COMPUTE_PGM_RSRC2:TGID_X_EN: 1
; COMPUTE_PGM_RSRC2:TGID_Y_EN: 0
; COMPUTE_PGM_RSRC2:TGID_Z_EN: 0
; COMPUTE_PGM_RSRC2:TIDIG_COMP_CNT: 0
; COMPUTE_PGM_RSRC3_GFX90A:ACCUM_OFFSET: 4
; COMPUTE_PGM_RSRC3_GFX90A:TG_SPLIT: 0
	.section	.text._ZN7rocprim17ROCPRIM_304000_NS6detail35device_block_merge_mergepath_kernelINS1_37wrapped_merge_sort_block_merge_configINS0_14default_configEiN2at4cuda3cub6detail10OpaqueTypeILi1EEEEEPiSC_PSA_SD_jNS1_19radix_merge_compareILb1ELb0EiNS0_19identity_decomposerEEEEEvT0_T1_T2_T3_T4_SL_jT5_PKSL_NS1_7vsmem_tE,"axG",@progbits,_ZN7rocprim17ROCPRIM_304000_NS6detail35device_block_merge_mergepath_kernelINS1_37wrapped_merge_sort_block_merge_configINS0_14default_configEiN2at4cuda3cub6detail10OpaqueTypeILi1EEEEEPiSC_PSA_SD_jNS1_19radix_merge_compareILb1ELb0EiNS0_19identity_decomposerEEEEEvT0_T1_T2_T3_T4_SL_jT5_PKSL_NS1_7vsmem_tE,comdat
	.protected	_ZN7rocprim17ROCPRIM_304000_NS6detail35device_block_merge_mergepath_kernelINS1_37wrapped_merge_sort_block_merge_configINS0_14default_configEiN2at4cuda3cub6detail10OpaqueTypeILi1EEEEEPiSC_PSA_SD_jNS1_19radix_merge_compareILb1ELb0EiNS0_19identity_decomposerEEEEEvT0_T1_T2_T3_T4_SL_jT5_PKSL_NS1_7vsmem_tE ; -- Begin function _ZN7rocprim17ROCPRIM_304000_NS6detail35device_block_merge_mergepath_kernelINS1_37wrapped_merge_sort_block_merge_configINS0_14default_configEiN2at4cuda3cub6detail10OpaqueTypeILi1EEEEEPiSC_PSA_SD_jNS1_19radix_merge_compareILb1ELb0EiNS0_19identity_decomposerEEEEEvT0_T1_T2_T3_T4_SL_jT5_PKSL_NS1_7vsmem_tE
	.globl	_ZN7rocprim17ROCPRIM_304000_NS6detail35device_block_merge_mergepath_kernelINS1_37wrapped_merge_sort_block_merge_configINS0_14default_configEiN2at4cuda3cub6detail10OpaqueTypeILi1EEEEEPiSC_PSA_SD_jNS1_19radix_merge_compareILb1ELb0EiNS0_19identity_decomposerEEEEEvT0_T1_T2_T3_T4_SL_jT5_PKSL_NS1_7vsmem_tE
	.p2align	8
	.type	_ZN7rocprim17ROCPRIM_304000_NS6detail35device_block_merge_mergepath_kernelINS1_37wrapped_merge_sort_block_merge_configINS0_14default_configEiN2at4cuda3cub6detail10OpaqueTypeILi1EEEEEPiSC_PSA_SD_jNS1_19radix_merge_compareILb1ELb0EiNS0_19identity_decomposerEEEEEvT0_T1_T2_T3_T4_SL_jT5_PKSL_NS1_7vsmem_tE,@function
_ZN7rocprim17ROCPRIM_304000_NS6detail35device_block_merge_mergepath_kernelINS1_37wrapped_merge_sort_block_merge_configINS0_14default_configEiN2at4cuda3cub6detail10OpaqueTypeILi1EEEEEPiSC_PSA_SD_jNS1_19radix_merge_compareILb1ELb0EiNS0_19identity_decomposerEEEEEvT0_T1_T2_T3_T4_SL_jT5_PKSL_NS1_7vsmem_tE: ; @_ZN7rocprim17ROCPRIM_304000_NS6detail35device_block_merge_mergepath_kernelINS1_37wrapped_merge_sort_block_merge_configINS0_14default_configEiN2at4cuda3cub6detail10OpaqueTypeILi1EEEEEPiSC_PSA_SD_jNS1_19radix_merge_compareILb1ELb0EiNS0_19identity_decomposerEEEEEvT0_T1_T2_T3_T4_SL_jT5_PKSL_NS1_7vsmem_tE
; %bb.0:
	s_load_dwordx2 s[10:11], s[0:1], 0x40
	s_load_dwordx4 s[20:23], s[0:1], 0x20
	s_add_u32 s8, s0, 64
	s_addc_u32 s9, s1, 0
	s_waitcnt lgkmcnt(0)
	s_mul_i32 s4, s11, s4
	s_add_i32 s3, s4, s3
	s_mul_i32 s3, s3, s10
	s_add_i32 s6, s3, s2
	s_cmp_ge_u32 s6, s22
	s_cbranch_scc1 .LBB3_105
; %bb.1:
	s_load_dwordx8 s[12:19], s[0:1], 0x0
	s_load_dwordx2 s[4:5], s[0:1], 0x30
	s_lshr_b32 s11, s20, 10
	s_cmp_lg_u32 s6, s11
	s_mov_b32 s7, 0
	s_cselect_b64 s[24:25], -1, 0
	s_lshl_b64 s[0:1], s[6:7], 2
	s_waitcnt lgkmcnt(0)
	s_add_u32 s0, s4, s0
	s_addc_u32 s1, s5, s1
	s_load_dwordx2 s[26:27], s[0:1], 0x0
	s_lshr_b32 s0, s21, 9
	s_and_b32 s0, s0, 0x7ffffe
	s_sub_i32 s0, 0, s0
	s_and_b32 s1, s6, s0
	s_lshl_b32 s3, s1, 10
	s_lshl_b32 s22, s6, 10
	;; [unrolled: 1-line block ×3, first 2 shown]
	s_sub_i32 s4, s22, s3
	s_add_i32 s1, s1, s21
	s_add_i32 s4, s1, s4
	s_waitcnt lgkmcnt(0)
	s_sub_i32 s5, s4, s26
	s_sub_i32 s4, s4, s27
	s_sub_i32 s1, s1, s3
	s_min_u32 s28, s20, s5
	s_addk_i32 s4, 0x400
	s_or_b32 s0, s6, s0
	s_min_u32 s3, s20, s1
	s_add_i32 s1, s1, s21
	s_cmp_eq_u32 s0, -1
	s_cselect_b32 s0, s1, s4
	s_cselect_b32 s1, s3, s27
	s_min_u32 s0, s0, s20
	s_mov_b32 s27, s7
	s_sub_i32 s23, s1, s26
	s_sub_i32 s33, s0, s28
	s_lshl_b64 s[0:1], s[26:27], 2
	s_add_u32 s0, s12, s0
	s_mov_b32 s29, s7
	s_addc_u32 s1, s13, s1
	s_lshl_b64 s[4:5], s[28:29], 2
	s_add_u32 s4, s12, s4
	s_addc_u32 s5, s13, s5
	s_cmp_lt_u32 s2, s10
	v_mov_b32_e32 v11, 0
	s_cselect_b32 s2, 12, 18
	global_load_dword v1, v11, s[8:9] offset:14
	s_add_u32 s2, s8, s2
	s_addc_u32 s3, s9, 0
	global_load_ushort v2, v11, s[2:3]
	v_cmp_gt_u32_e32 vcc, s23, v0
	s_cmp_eq_u32 s6, s11
	v_lshlrev_b32_e32 v10, 2, v0
	s_waitcnt vmcnt(1)
	v_lshrrev_b32_e32 v3, 16, v1
	v_and_b32_e32 v1, 0xffff, v1
	v_mul_lo_u32 v1, v1, v3
	s_waitcnt vmcnt(0)
	v_mul_lo_u32 v1, v1, v2
	v_add_u32_e32 v14, v1, v0
	v_add_u32_e32 v12, v14, v1
	s_cbranch_scc1 .LBB3_3
; %bb.2:
	v_subrev_u32_e32 v4, s23, v0
	v_mov_b32_e32 v5, v11
	v_lshl_add_u64 v[2:3], s[0:1], 0, v[10:11]
	v_lshl_add_u64 v[4:5], v[4:5], 2, s[4:5]
	v_mov_b32_e32 v15, v11
	v_subrev_u32_e32 v6, s23, v14
	v_mov_b32_e32 v7, v11
	v_cndmask_b32_e32 v3, v5, v3, vcc
	v_cndmask_b32_e32 v2, v4, v2, vcc
	v_lshl_add_u64 v[4:5], v[14:15], 2, s[0:1]
	v_lshl_add_u64 v[6:7], v[6:7], 2, s[4:5]
	v_cmp_gt_u32_e32 vcc, s23, v14
	v_mov_b32_e32 v13, v11
	global_load_dword v2, v[2:3], off
	v_cndmask_b32_e32 v5, v7, v5, vcc
	v_cndmask_b32_e32 v4, v6, v4, vcc
	v_subrev_u32_e32 v6, s23, v12
	v_mov_b32_e32 v7, v11
	global_load_dword v3, v[4:5], off
	v_lshl_add_u64 v[4:5], v[12:13], 2, s[0:1]
	v_lshl_add_u64 v[6:7], v[6:7], 2, s[4:5]
	v_cmp_gt_u32_e32 vcc, s23, v12
	v_mov_b32_e32 v17, v11
	v_mov_b32_e32 v19, v11
	v_cndmask_b32_e32 v4, v6, v4, vcc
	v_add_u32_e32 v6, v12, v1
	v_cndmask_b32_e32 v5, v7, v5, vcc
	v_mov_b32_e32 v7, v11
	v_subrev_u32_e32 v16, s23, v6
	v_lshl_add_u64 v[8:9], v[6:7], 2, s[0:1]
	v_lshl_add_u64 v[16:17], v[16:17], 2, s[4:5]
	v_cmp_gt_u32_e32 vcc, s23, v6
	global_load_dword v4, v[4:5], off
	v_mov_b32_e32 v21, v11
	v_cndmask_b32_e32 v9, v17, v9, vcc
	v_cndmask_b32_e32 v8, v16, v8, vcc
	global_load_dword v5, v[8:9], off
	v_add_u32_e32 v8, v6, v1
	v_mov_b32_e32 v9, v11
	v_lshl_add_u64 v[6:7], v[8:9], 2, s[0:1]
	v_subrev_u32_e32 v16, s23, v8
	v_mov_b32_e32 v17, v11
	v_cmp_gt_u32_e32 vcc, s23, v8
	v_add_u32_e32 v8, v8, v1
	v_lshl_add_u64 v[16:17], v[16:17], 2, s[4:5]
	v_subrev_u32_e32 v18, s23, v8
	v_cndmask_b32_e32 v7, v17, v7, vcc
	v_cndmask_b32_e32 v6, v16, v6, vcc
	v_lshl_add_u64 v[16:17], v[8:9], 2, s[0:1]
	v_lshl_add_u64 v[18:19], v[18:19], 2, s[4:5]
	v_cmp_gt_u32_e32 vcc, s23, v8
	global_load_dword v6, v[6:7], off
	s_add_i32 s21, s33, s23
	v_cndmask_b32_e32 v17, v19, v17, vcc
	v_cndmask_b32_e32 v16, v18, v16, vcc
	global_load_dword v7, v[16:17], off
	v_add_u32_e32 v16, v8, v1
	v_mov_b32_e32 v17, v11
	v_lshl_add_u64 v[8:9], v[16:17], 2, s[0:1]
	v_subrev_u32_e32 v18, s23, v16
	v_mov_b32_e32 v19, v11
	v_cmp_gt_u32_e32 vcc, s23, v16
	v_add_u32_e32 v16, v16, v1
	v_lshl_add_u64 v[18:19], v[18:19], 2, s[4:5]
	v_subrev_u32_e32 v20, s23, v16
	v_cndmask_b32_e32 v9, v19, v9, vcc
	v_cndmask_b32_e32 v8, v18, v8, vcc
	v_lshl_add_u64 v[18:19], v[16:17], 2, s[0:1]
	v_lshl_add_u64 v[20:21], v[20:21], 2, s[4:5]
	v_cmp_gt_u32_e32 vcc, s23, v16
	global_load_dword v8, v[8:9], off
	s_nop 0
	v_cndmask_b32_e32 v17, v21, v19, vcc
	v_cndmask_b32_e32 v16, v20, v18, vcc
	global_load_dword v9, v[16:17], off
	s_cbranch_execz .LBB3_4
	s_branch .LBB3_19
.LBB3_3:
                                        ; implicit-def: $vgpr2_vgpr3_vgpr4_vgpr5_vgpr6_vgpr7_vgpr8_vgpr9
                                        ; implicit-def: $sgpr21
.LBB3_4:
	s_add_i32 s21, s33, s23
	v_cmp_gt_u32_e32 vcc, s21, v0
                                        ; implicit-def: $vgpr2_vgpr3_vgpr4_vgpr5_vgpr6_vgpr7_vgpr8_vgpr9
	s_and_saveexec_b64 s[2:3], vcc
	s_cbranch_execnz .LBB3_106
; %bb.5:
	s_or_b64 exec, exec, s[2:3]
	v_cmp_gt_u32_e32 vcc, s21, v14
	s_and_saveexec_b64 s[2:3], vcc
	s_cbranch_execnz .LBB3_107
.LBB3_6:
	s_or_b64 exec, exec, s[2:3]
	v_cmp_gt_u32_e32 vcc, s21, v12
	s_and_saveexec_b64 s[2:3], vcc
	s_cbranch_execz .LBB3_8
.LBB3_7:
	v_mov_b32_e32 v13, 0
	v_subrev_u32_e32 v16, s23, v12
	v_mov_b32_e32 v17, v13
	v_lshl_add_u64 v[14:15], v[12:13], 2, s[0:1]
	v_lshl_add_u64 v[16:17], v[16:17], 2, s[4:5]
	v_cmp_gt_u32_e32 vcc, s23, v12
	s_nop 1
	v_cndmask_b32_e32 v15, v17, v15, vcc
	v_cndmask_b32_e32 v14, v16, v14, vcc
	global_load_dword v4, v[14:15], off
.LBB3_8:
	s_or_b64 exec, exec, s[2:3]
	v_add_u32_e32 v12, v12, v1
	v_cmp_gt_u32_e32 vcc, s21, v12
	s_and_saveexec_b64 s[2:3], vcc
	s_cbranch_execz .LBB3_10
; %bb.9:
	v_mov_b32_e32 v13, 0
	v_subrev_u32_e32 v16, s23, v12
	v_mov_b32_e32 v17, v13
	v_lshl_add_u64 v[14:15], v[12:13], 2, s[0:1]
	v_lshl_add_u64 v[16:17], v[16:17], 2, s[4:5]
	v_cmp_gt_u32_e32 vcc, s23, v12
	s_nop 1
	v_cndmask_b32_e32 v15, v17, v15, vcc
	v_cndmask_b32_e32 v14, v16, v14, vcc
	global_load_dword v5, v[14:15], off
.LBB3_10:
	s_or_b64 exec, exec, s[2:3]
	v_add_u32_e32 v12, v12, v1
	v_cmp_gt_u32_e32 vcc, s21, v12
	s_and_saveexec_b64 s[2:3], vcc
	s_cbranch_execz .LBB3_12
; %bb.11:
	v_mov_b32_e32 v13, 0
	v_subrev_u32_e32 v16, s23, v12
	v_mov_b32_e32 v17, v13
	v_lshl_add_u64 v[14:15], v[12:13], 2, s[0:1]
	v_lshl_add_u64 v[16:17], v[16:17], 2, s[4:5]
	v_cmp_gt_u32_e32 vcc, s23, v12
	s_nop 1
	v_cndmask_b32_e32 v15, v17, v15, vcc
	v_cndmask_b32_e32 v14, v16, v14, vcc
	global_load_dword v6, v[14:15], off
.LBB3_12:
	;; [unrolled: 17-line block ×4, first 2 shown]
	s_or_b64 exec, exec, s[2:3]
	v_add_u32_e32 v12, v12, v1
	v_cmp_gt_u32_e32 vcc, s21, v12
	s_and_saveexec_b64 s[2:3], vcc
	s_cbranch_execz .LBB3_18
; %bb.17:
	v_mov_b32_e32 v13, 0
	v_lshl_add_u64 v[14:15], v[12:13], 2, s[0:1]
	v_cmp_gt_u32_e32 vcc, s23, v12
	v_subrev_u32_e32 v12, s23, v12
	v_lshl_add_u64 v[12:13], v[12:13], 2, s[4:5]
	v_cndmask_b32_e32 v13, v13, v15, vcc
	v_cndmask_b32_e32 v12, v12, v14, vcc
	global_load_dword v9, v[12:13], off
.LBB3_18:
	s_or_b64 exec, exec, s[2:3]
.LBB3_19:
	v_lshlrev_b32_e32 v11, 3, v0
	v_min_u32_e32 v1, s21, v11
	v_sub_u32_e64 v12, v1, s33 clamp
	v_min_u32_e32 v13, s23, v1
	v_cmp_lt_u32_e32 vcc, v12, v13
	s_waitcnt vmcnt(0)
	ds_write2st64_b32 v10, v2, v3 offset1:2
	ds_write2st64_b32 v10, v4, v5 offset0:4 offset1:6
	ds_write2st64_b32 v10, v6, v7 offset0:8 offset1:10
	;; [unrolled: 1-line block ×3, first 2 shown]
	s_waitcnt lgkmcnt(0)
	s_barrier
	s_and_saveexec_b64 s[0:1], vcc
	s_cbranch_execz .LBB3_23
; %bb.20:
	v_lshlrev_b32_e32 v14, 2, v1
	v_lshl_add_u32 v14, s23, 2, v14
	s_mov_b64 s[2:3], 0
.LBB3_21:                               ; =>This Inner Loop Header: Depth=1
	v_add_u32_e32 v15, v13, v12
	v_lshrrev_b32_e32 v15, 1, v15
	v_not_b32_e32 v16, v15
	v_lshlrev_b32_e32 v17, 2, v15
	v_lshl_add_u32 v16, v16, 2, v14
	ds_read_b32 v17, v17
	ds_read_b32 v16, v16
	v_add_u32_e32 v18, 1, v15
	s_waitcnt lgkmcnt(0)
	v_cmp_gt_i32_e32 vcc, v16, v17
	s_nop 1
	v_cndmask_b32_e32 v13, v13, v15, vcc
	v_cndmask_b32_e32 v12, v18, v12, vcc
	v_cmp_ge_u32_e32 vcc, v12, v13
	s_or_b64 s[2:3], vcc, s[2:3]
	s_andn2_b64 exec, exec, s[2:3]
	s_cbranch_execnz .LBB3_21
; %bb.22:
	s_or_b64 exec, exec, s[2:3]
.LBB3_23:
	s_or_b64 exec, exec, s[0:1]
	v_sub_u32_e32 v1, v1, v12
	v_add_u32_e32 v13, s23, v1
	v_cmp_ge_u32_e32 vcc, s23, v12
	v_cmp_ge_u32_e64 s[0:1], s21, v13
	s_or_b64 s[0:1], vcc, s[0:1]
                                        ; implicit-def: $vgpr20
                                        ; implicit-def: $vgpr25
                                        ; implicit-def: $vgpr24
                                        ; implicit-def: $vgpr23
                                        ; implicit-def: $vgpr22
                                        ; implicit-def: $vgpr21
                                        ; implicit-def: $vgpr19
                                        ; implicit-def: $vgpr18
	s_and_saveexec_b64 s[30:31], s[0:1]
	s_cbranch_execz .LBB3_29
; %bb.24:
	v_cmp_gt_u32_e32 vcc, s23, v12
                                        ; implicit-def: $vgpr1
	s_and_saveexec_b64 s[0:1], vcc
	s_cbranch_execz .LBB3_26
; %bb.25:
	v_lshlrev_b32_e32 v1, 2, v12
	ds_read_b32 v1, v1
.LBB3_26:
	s_or_b64 exec, exec, s[0:1]
	v_cmp_le_u32_e64 s[0:1], s21, v13
	v_cmp_gt_u32_e64 s[2:3], s21, v13
                                        ; implicit-def: $vgpr2
	s_and_saveexec_b64 s[4:5], s[2:3]
	s_cbranch_execz .LBB3_28
; %bb.27:
	v_lshlrev_b32_e32 v2, 2, v13
	ds_read_b32 v2, v2
.LBB3_28:
	s_or_b64 exec, exec, s[4:5]
	s_waitcnt lgkmcnt(0)
	v_cmp_le_i32_e64 s[2:3], v2, v1
	s_and_b64 s[2:3], vcc, s[2:3]
	s_or_b64 vcc, s[0:1], s[2:3]
	v_mov_b32_e32 v5, s21
	v_mov_b32_e32 v6, s23
	v_cndmask_b32_e32 v18, v13, v12, vcc
	v_cndmask_b32_e32 v3, v5, v6, vcc
	v_add_u32_e32 v4, 1, v18
	v_add_u32_e32 v3, -1, v3
	v_min_u32_e32 v3, v4, v3
	v_lshlrev_b32_e32 v3, 2, v3
	ds_read_b32 v3, v3
	v_cndmask_b32_e32 v8, v4, v13, vcc
	v_cndmask_b32_e32 v4, v12, v4, vcc
	v_cmp_gt_u32_e64 s[2:3], s23, v4
	v_cmp_le_u32_e64 s[0:1], s21, v8
	s_waitcnt lgkmcnt(0)
	v_cndmask_b32_e32 v7, v3, v2, vcc
	v_cndmask_b32_e32 v3, v1, v3, vcc
	v_cmp_le_i32_e64 s[4:5], v7, v3
	s_and_b64 s[2:3], s[2:3], s[4:5]
	s_or_b64 s[0:1], s[0:1], s[2:3]
	v_cndmask_b32_e64 v19, v8, v4, s[0:1]
	v_cndmask_b32_e64 v9, v5, v6, s[0:1]
	v_add_u32_e32 v12, 1, v19
	v_add_u32_e32 v9, -1, v9
	v_min_u32_e32 v9, v12, v9
	v_lshlrev_b32_e32 v9, 2, v9
	ds_read_b32 v9, v9
	v_cndmask_b32_e64 v4, v4, v12, s[0:1]
	v_cndmask_b32_e64 v8, v12, v8, s[0:1]
	v_cmp_gt_u32_e64 s[4:5], s23, v4
	v_cmp_le_u32_e64 s[2:3], s21, v8
	s_waitcnt lgkmcnt(0)
	v_cndmask_b32_e64 v13, v9, v7, s[0:1]
	v_cndmask_b32_e64 v9, v3, v9, s[0:1]
	v_cmp_le_i32_e64 s[6:7], v13, v9
	s_and_b64 s[4:5], s[4:5], s[6:7]
	s_or_b64 s[2:3], s[2:3], s[4:5]
	v_cndmask_b32_e64 v21, v8, v4, s[2:3]
	v_cndmask_b32_e64 v12, v5, v6, s[2:3]
	v_add_u32_e32 v14, 1, v21
	v_add_u32_e32 v12, -1, v12
	v_min_u32_e32 v12, v14, v12
	v_lshlrev_b32_e32 v12, 2, v12
	ds_read_b32 v12, v12
	v_cndmask_b32_e64 v4, v4, v14, s[2:3]
	v_cndmask_b32_e64 v8, v14, v8, s[2:3]
	v_cmp_gt_u32_e64 s[6:7], s23, v4
	v_cmp_le_u32_e64 s[4:5], s21, v8
	s_waitcnt lgkmcnt(0)
	v_cndmask_b32_e64 v15, v12, v13, s[2:3]
	v_cndmask_b32_e64 v12, v9, v12, s[2:3]
	;; [unrolled: 17-line block ×4, first 2 shown]
	v_cmp_le_i32_e64 s[12:13], v26, v16
	s_and_b64 s[10:11], s[10:11], s[12:13]
	s_or_b64 s[8:9], s[8:9], s[10:11]
	v_cndmask_b32_e64 v24, v8, v20, s[8:9]
	v_cndmask_b32_e64 v4, v5, v6, s[8:9]
	v_add_u32_e32 v25, 1, v24
	v_add_u32_e32 v4, -1, v4
	v_min_u32_e32 v4, v25, v4
	v_lshlrev_b32_e32 v4, 2, v4
	ds_read_b32 v27, v4
	v_cndmask_b32_e32 v2, v2, v1, vcc
	v_cndmask_b32_e64 v4, v13, v9, s[2:3]
	v_cndmask_b32_e64 v20, v20, v25, s[8:9]
	;; [unrolled: 1-line block ×3, first 2 shown]
	s_waitcnt lgkmcnt(0)
	v_cndmask_b32_e64 v1, v27, v26, s[8:9]
	v_cndmask_b32_e64 v9, v16, v27, s[8:9]
	;; [unrolled: 1-line block ×3, first 2 shown]
	v_cmp_gt_u32_e64 s[0:1], s23, v20
	v_cmp_le_i32_e64 s[2:3], v1, v9
	v_cmp_le_u32_e32 vcc, s21, v13
	s_and_b64 s[0:1], s[0:1], s[2:3]
	s_or_b64 vcc, vcc, s[0:1]
	v_cndmask_b32_e32 v25, v13, v20, vcc
	v_cndmask_b32_e32 v5, v5, v6, vcc
	v_add_u32_e32 v27, 1, v25
	v_add_u32_e32 v5, -1, v5
	v_min_u32_e32 v5, v27, v5
	v_lshlrev_b32_e32 v5, 2, v5
	ds_read_b32 v28, v5
	v_cndmask_b32_e64 v5, v15, v12, s[4:5]
	v_cndmask_b32_e32 v8, v1, v9, vcc
	v_cndmask_b32_e32 v12, v27, v13, vcc
	v_cndmask_b32_e32 v13, v20, v27, vcc
	s_waitcnt lgkmcnt(0)
	v_cndmask_b32_e32 v1, v28, v1, vcc
	v_cndmask_b32_e32 v9, v9, v28, vcc
	v_cmp_gt_u32_e64 s[0:1], s23, v13
	v_cmp_le_i32_e64 s[2:3], v1, v9
	v_cmp_le_u32_e32 vcc, s21, v12
	s_and_b64 s[0:1], s[0:1], s[2:3]
	s_or_b64 vcc, vcc, s[0:1]
	v_cndmask_b32_e64 v6, v17, v14, s[6:7]
	v_cndmask_b32_e64 v7, v26, v16, s[8:9]
	v_cndmask_b32_e32 v20, v12, v13, vcc
	v_cndmask_b32_e32 v9, v1, v9, vcc
.LBB3_29:
	s_or_b64 exec, exec, s[30:31]
	s_add_u32 s8, s16, s26
	s_addc_u32 s9, s17, 0
	v_mov_b32_e32 v1, 0
	s_add_u32 s6, s16, s28
	v_cndmask_b32_e64 v12, 0, 1, s[24:25]
	s_addc_u32 s7, s17, 0
	v_cmp_gt_u32_e64 s[4:5], s23, v0
	v_cmp_le_u32_e64 s[2:3], s23, v0
	v_cmp_ne_u32_e64 s[0:1], 1, v12
	s_andn2_b64 vcc, exec, s[24:25]
	v_lshl_add_u64 v[12:13], s[8:9], 0, v[0:1]
	s_barrier
	s_cbranch_vccnz .LBB3_31
; %bb.30:
	v_subrev_u32_e32 v14, s23, v0
	v_mov_b32_e32 v15, v1
	v_lshl_add_u64 v[14:15], s[6:7], 0, v[14:15]
	v_lshl_add_u64 v[26:27], s[8:9], 0, v[0:1]
	v_or_b32_e32 v29, 0x80, v0
	v_cndmask_b32_e64 v15, v15, v27, s[4:5]
	v_cndmask_b32_e64 v14, v14, v26, s[4:5]
	s_mov_b64 s[4:5], 0x80
	v_subrev_u32_e32 v16, s23, v29
	v_mov_b32_e32 v17, v1
	global_load_ubyte v28, v[14:15], off
	v_lshl_add_u64 v[14:15], v[26:27], 0, s[4:5]
	v_lshl_add_u64 v[16:17], s[6:7], 0, v[16:17]
	v_cmp_gt_u32_e32 vcc, s23, v29
	v_or_b32_e32 v30, 0x100, v0
	s_mov_b64 s[4:5], 0x100
	v_cndmask_b32_e32 v15, v17, v15, vcc
	v_cndmask_b32_e32 v14, v16, v14, vcc
	v_subrev_u32_e32 v16, s23, v30
	v_mov_b32_e32 v17, v1
	global_load_ubyte v29, v[14:15], off
	v_lshl_add_u64 v[14:15], v[26:27], 0, s[4:5]
	v_lshl_add_u64 v[16:17], s[6:7], 0, v[16:17]
	v_cmp_gt_u32_e32 vcc, s23, v30
	v_or_b32_e32 v31, 0x180, v0
	s_mov_b64 s[4:5], 0x180
	v_cndmask_b32_e32 v15, v17, v15, vcc
	v_cndmask_b32_e32 v14, v16, v14, vcc
	;; [unrolled: 10-line block ×5, first 2 shown]
	v_subrev_u32_e32 v16, s23, v34
	v_mov_b32_e32 v17, v1
	global_load_ubyte v33, v[14:15], off
	v_lshl_add_u64 v[14:15], v[26:27], 0, s[4:5]
	v_lshl_add_u64 v[16:17], s[6:7], 0, v[16:17]
	v_cmp_gt_u32_e32 vcc, s23, v34
	s_mov_b64 s[4:5], 0x380
	s_nop 0
	v_cndmask_b32_e32 v15, v17, v15, vcc
	v_cndmask_b32_e32 v14, v16, v14, vcc
	global_load_ubyte v17, v[14:15], off
	v_or_b32_e32 v16, 0x380, v0
	v_lshl_add_u64 v[14:15], v[26:27], 0, s[4:5]
	v_subrev_u32_e32 v26, s23, v16
	v_mov_b32_e32 v27, v1
	v_lshl_add_u64 v[26:27], s[6:7], 0, v[26:27]
	v_cmp_gt_u32_e32 vcc, s23, v16
	s_mov_b64 s[4:5], -1
	s_waitcnt vmcnt(6)
	ds_write_b8 v0, v28
	s_waitcnt vmcnt(5)
	ds_write_b8 v0, v29 offset:128
	s_waitcnt vmcnt(4)
	ds_write_b8 v0, v30 offset:256
	;; [unrolled: 2-line block ×6, first 2 shown]
	v_cndmask_b32_e32 v15, v27, v15, vcc
	v_cndmask_b32_e32 v14, v26, v14, vcc
	s_cbranch_execz .LBB3_32
	s_branch .LBB3_67
.LBB3_31:
	s_mov_b64 s[4:5], 0
                                        ; implicit-def: $vgpr16
                                        ; implicit-def: $vgpr14_vgpr15
.LBB3_32:
	s_mov_b64 s[8:9], 0
                                        ; implicit-def: $vgpr14_vgpr15
	s_and_saveexec_b64 s[10:11], s[2:3]
	s_xor_b64 s[2:3], exec, s[10:11]
	s_cbranch_execnz .LBB3_108
; %bb.33:
	s_andn2_saveexec_b64 s[2:3], s[2:3]
	s_cbranch_execnz .LBB3_111
.LBB3_34:
	s_or_b64 exec, exec, s[2:3]
	s_and_saveexec_b64 s[2:3], s[8:9]
	s_cbranch_execz .LBB3_36
.LBB3_35:
	global_load_ubyte v1, v[14:15], off
	s_waitcnt vmcnt(0)
	ds_write_b8 v0, v1
.LBB3_36:
	s_or_b64 exec, exec, s[2:3]
	v_or_b32_e32 v14, 0x80, v0
	v_cmp_le_u32_e32 vcc, s23, v14
	s_mov_b64 s[2:3], -1
	v_mov_b64_e32 v[16:17], s[26:27]
	s_and_saveexec_b64 s[8:9], vcc
; %bb.37:
	v_subrev_u32_e32 v14, s23, v14
	v_cmp_gt_u32_e32 vcc, s33, v14
	v_mov_b64_e32 v[16:17], s[28:29]
	s_orn2_b64 s[2:3], vcc, exec
; %bb.38:
	s_or_b64 exec, exec, s[8:9]
	s_and_saveexec_b64 s[8:9], s[2:3]
	s_cbranch_execz .LBB3_40
; %bb.39:
	v_lshl_add_u64 v[16:17], s[16:17], 0, v[16:17]
	v_mov_b32_e32 v15, 0
	v_lshl_add_u64 v[14:15], v[16:17], 0, v[14:15]
	global_load_ubyte v1, v[14:15], off
	s_waitcnt vmcnt(0)
	ds_write_b8 v0, v1 offset:128
.LBB3_40:
	s_or_b64 exec, exec, s[8:9]
	v_or_b32_e32 v14, 0x100, v0
	v_cmp_le_u32_e32 vcc, s23, v14
	s_mov_b64 s[2:3], -1
	v_mov_b64_e32 v[16:17], s[26:27]
	s_and_saveexec_b64 s[8:9], vcc
; %bb.41:
	v_subrev_u32_e32 v14, s23, v14
	v_cmp_gt_u32_e32 vcc, s33, v14
	v_mov_b64_e32 v[16:17], s[28:29]
	s_orn2_b64 s[2:3], vcc, exec
; %bb.42:
	s_or_b64 exec, exec, s[8:9]
	s_and_saveexec_b64 s[8:9], s[2:3]
	s_cbranch_execz .LBB3_44
; %bb.43:
	v_lshl_add_u64 v[16:17], s[16:17], 0, v[16:17]
	v_mov_b32_e32 v15, 0
	v_lshl_add_u64 v[14:15], v[16:17], 0, v[14:15]
	global_load_ubyte v1, v[14:15], off
	s_waitcnt vmcnt(0)
	ds_write_b8 v0, v1 offset:256
.LBB3_44:
	;; [unrolled: 23-line block ×6, first 2 shown]
	s_or_b64 exec, exec, s[8:9]
	v_or_b32_e32 v1, 0x380, v0
	v_cmp_le_u32_e32 vcc, s23, v1
                                        ; implicit-def: $vgpr16
                                        ; implicit-def: $vgpr14_vgpr15
	s_and_saveexec_b64 s[2:3], vcc
	s_xor_b64 s[2:3], exec, s[2:3]
	s_cbranch_execz .LBB3_64
; %bb.61:
	v_subrev_u32_e32 v12, s23, v1
	v_cmp_gt_u32_e32 vcc, s33, v12
	s_mov_b64 s[8:9], s[4:5]
                                        ; implicit-def: $vgpr16
                                        ; implicit-def: $vgpr14_vgpr15
	s_and_saveexec_b64 s[10:11], vcc
; %bb.62:
	v_mov_b32_e32 v13, 0
	v_or_b32_e32 v16, 0x380, v0
	v_lshl_add_u64 v[14:15], s[6:7], 0, v[12:13]
	s_or_b64 s[8:9], s[4:5], exec
; %bb.63:
	s_or_b64 exec, exec, s[10:11]
	s_andn2_b64 s[4:5], s[4:5], exec
	s_and_b64 s[6:7], s[8:9], exec
	s_or_b64 s[4:5], s[4:5], s[6:7]
                                        ; implicit-def: $vgpr12_vgpr13
.LBB3_64:
	s_andn2_saveexec_b64 s[2:3], s[2:3]
; %bb.65:
	s_mov_b64 s[6:7], 0x380
	v_lshl_add_u64 v[14:15], v[12:13], 0, s[6:7]
	v_or_b32_e32 v16, 0x380, v0
	s_or_b64 s[4:5], s[4:5], exec
; %bb.66:
	s_or_b64 exec, exec, s[2:3]
.LBB3_67:
	s_and_saveexec_b64 s[2:3], s[4:5]
	s_cbranch_execz .LBB3_69
; %bb.68:
	global_load_ubyte v1, v[14:15], off
	s_waitcnt vmcnt(0)
	ds_write_b8 v16, v1
.LBB3_69:
	s_or_b64 exec, exec, s[2:3]
	s_and_b64 vcc, exec, s[0:1]
	v_add_u32_e32 v12, s22, v11
	s_waitcnt lgkmcnt(0)
	s_barrier
	s_cbranch_vccnz .LBB3_71
; %bb.70:
	ds_read_u8 v1, v18
	ds_read_u8 v14, v19
	;; [unrolled: 1-line block ×7, first 2 shown]
	s_waitcnt lgkmcnt(5)
	v_lshlrev_b16_e32 v14, 8, v14
	v_or_b32_e32 v1, v1, v14
	s_waitcnt lgkmcnt(3)
	v_lshlrev_b16_e32 v14, 8, v16
	v_or_b32_sdwa v14, v15, v14 dst_sel:WORD_1 dst_unused:UNUSED_PAD src0_sel:DWORD src1_sel:DWORD
	v_mov_b32_e32 v13, 0
	v_or_b32_sdwa v1, v1, v14 dst_sel:DWORD dst_unused:UNUSED_PAD src0_sel:WORD_0 src1_sel:DWORD
	s_waitcnt lgkmcnt(1)
	v_lshlrev_b16_e32 v14, 8, v26
	s_mov_b64 s[0:1], -1
	v_or_b32_e32 v14, v17, v14
	s_waitcnt lgkmcnt(0)
	global_store_byte v12, v27, s[18:19] offset:6
	global_store_short v12, v14, s[18:19] offset:4
	global_store_dword v12, v1, s[18:19]
	s_cbranch_execz .LBB3_72
	s_branch .LBB3_89
.LBB3_71:
	s_mov_b64 s[0:1], 0
.LBB3_72:
	v_cmp_gt_u32_e32 vcc, s21, v11
	s_and_saveexec_b64 s[2:3], vcc
	s_cbranch_execz .LBB3_74
; %bb.73:
	ds_read_u8 v1, v18
	s_waitcnt lgkmcnt(0)
	global_store_byte v12, v1, s[18:19]
.LBB3_74:
	s_or_b64 exec, exec, s[2:3]
	v_or_b32_e32 v1, 1, v11
	v_cmp_gt_u32_e32 vcc, s21, v1
	s_and_saveexec_b64 s[2:3], vcc
	s_cbranch_execz .LBB3_76
; %bb.75:
	ds_read_u8 v1, v19
	s_waitcnt lgkmcnt(0)
	global_store_byte v12, v1, s[18:19] offset:1
.LBB3_76:
	s_or_b64 exec, exec, s[2:3]
	v_or_b32_e32 v1, 2, v11
	v_cmp_gt_u32_e32 vcc, s21, v1
	s_and_saveexec_b64 s[2:3], vcc
	s_cbranch_execz .LBB3_78
; %bb.77:
	ds_read_u8 v1, v21
	s_waitcnt lgkmcnt(0)
	global_store_byte v12, v1, s[18:19] offset:2
.LBB3_78:
	;; [unrolled: 10-line block ×6, first 2 shown]
	s_or_b64 exec, exec, s[2:3]
	v_or_b32_e32 v1, 7, v11
	v_cmp_gt_u32_e32 vcc, s21, v1
	s_and_saveexec_b64 s[2:3], vcc
; %bb.87:
	v_mov_b32_e32 v13, 0
	s_or_b64 s[0:1], s[0:1], exec
; %bb.88:
	s_or_b64 exec, exec, s[2:3]
.LBB3_89:
	s_and_saveexec_b64 s[2:3], s[0:1]
	s_cbranch_execz .LBB3_91
; %bb.90:
	ds_read_u8 v1, v20
	v_lshl_add_u64 v[12:13], s[18:19], 0, v[12:13]
	s_waitcnt lgkmcnt(0)
	global_store_byte v[12:13], v1, off offset:7
.LBB3_91:
	s_or_b64 exec, exec, s[2:3]
	v_and_b32_e32 v1, 0x7c, v0
	v_lshl_add_u32 v1, v11, 2, v1
	s_barrier
	s_barrier
	ds_write2_b32 v1, v2, v3 offset1:1
	ds_write2_b32 v1, v4, v5 offset0:2 offset1:3
	ds_write2_b32 v1, v6, v7 offset0:4 offset1:5
	;; [unrolled: 1-line block ×3, first 2 shown]
	v_lshrrev_b32_e32 v1, 3, v0
	v_and_b32_e32 v1, 12, v1
	v_or_b32_e32 v11, 0x80, v0
	v_add_u32_e32 v12, v10, v1
	v_lshrrev_b32_e32 v1, 3, v11
	v_and_b32_e32 v1, 28, v1
	v_or_b32_e32 v9, 0x100, v0
	v_add_u32_e32 v13, v10, v1
	;; [unrolled: 4-line block ×6, first 2 shown]
	v_lshrrev_b32_e32 v1, 3, v4
	v_and_b32_e32 v1, 0x6c, v1
	s_mov_b32 s23, 0
	v_add_u32_e32 v18, v10, v1
	v_or_b32_e32 v1, 0x380, v0
	s_lshl_b64 s[0:1], s[22:23], 2
	v_lshrrev_b32_e32 v2, 3, v1
	s_add_u32 s0, s14, s0
	v_and_b32_e32 v2, 0x7c, v2
	s_addc_u32 s1, s15, s1
	v_add_u32_e32 v19, v10, v2
	v_lshlrev_b32_e32 v2, 2, v0
	v_mov_b32_e32 v3, 0
	v_lshl_add_u64 v[2:3], s[0:1], 0, v[2:3]
	s_and_b64 vcc, exec, s[24:25]
	s_waitcnt lgkmcnt(0)
	s_cbranch_vccz .LBB3_93
; %bb.92:
	s_barrier
	ds_read_b32 v10, v12
	ds_read_b32 v20, v13 offset:512
	ds_read_b32 v21, v14 offset:1024
	;; [unrolled: 1-line block ×7, first 2 shown]
	s_waitcnt lgkmcnt(7)
	global_store_dword v[2:3], v10, off
	s_waitcnt lgkmcnt(6)
	global_store_dword v[2:3], v20, off offset:512
	s_waitcnt lgkmcnt(5)
	global_store_dword v[2:3], v21, off offset:1024
	;; [unrolled: 2-line block ×6, first 2 shown]
	s_mov_b64 s[0:1], -1
	s_cbranch_execz .LBB3_94
	s_branch .LBB3_103
.LBB3_93:
	s_mov_b64 s[0:1], 0
                                        ; implicit-def: $vgpr7
.LBB3_94:
	s_barrier
	s_waitcnt lgkmcnt(0)
	ds_read_b32 v21, v13 offset:512
	ds_read_b32 v20, v14 offset:1024
	;; [unrolled: 1-line block ×7, first 2 shown]
	s_sub_i32 s2, s20, s22
	v_cmp_gt_u32_e32 vcc, s2, v0
	s_and_saveexec_b64 s[0:1], vcc
	s_cbranch_execnz .LBB3_112
; %bb.95:
	s_or_b64 exec, exec, s[0:1]
	v_cmp_gt_u32_e32 vcc, s2, v11
	s_and_saveexec_b64 s[0:1], vcc
	s_cbranch_execnz .LBB3_113
.LBB3_96:
	s_or_b64 exec, exec, s[0:1]
	v_cmp_gt_u32_e32 vcc, s2, v9
	s_and_saveexec_b64 s[0:1], vcc
	s_cbranch_execnz .LBB3_114
.LBB3_97:
	s_or_b64 exec, exec, s[0:1]
	v_cmp_gt_u32_e32 vcc, s2, v8
	s_and_saveexec_b64 s[0:1], vcc
	s_cbranch_execnz .LBB3_115
.LBB3_98:
	s_or_b64 exec, exec, s[0:1]
	v_cmp_gt_u32_e32 vcc, s2, v6
	s_and_saveexec_b64 s[0:1], vcc
	s_cbranch_execnz .LBB3_116
.LBB3_99:
	s_or_b64 exec, exec, s[0:1]
	v_cmp_gt_u32_e32 vcc, s2, v5
	s_and_saveexec_b64 s[0:1], vcc
	s_cbranch_execnz .LBB3_117
.LBB3_100:
	s_or_b64 exec, exec, s[0:1]
	v_cmp_gt_u32_e32 vcc, s2, v4
	s_and_saveexec_b64 s[0:1], vcc
	s_cbranch_execz .LBB3_102
.LBB3_101:
	s_waitcnt lgkmcnt(1)
	global_store_dword v[2:3], v10, off offset:3072
.LBB3_102:
	s_or_b64 exec, exec, s[0:1]
	v_cmp_gt_u32_e64 s[0:1], s2, v1
.LBB3_103:
	s_and_saveexec_b64 s[2:3], s[0:1]
	s_cbranch_execz .LBB3_105
; %bb.104:
	s_waitcnt lgkmcnt(0)
	global_store_dword v[2:3], v7, off offset:3584
.LBB3_105:
	s_endpgm
.LBB3_106:
	v_mov_b32_e32 v11, 0
	s_waitcnt vmcnt(5)
	v_subrev_u32_e32 v4, s23, v0
	s_waitcnt vmcnt(4)
	v_mov_b32_e32 v5, v11
	v_lshl_add_u64 v[2:3], s[0:1], 0, v[10:11]
	v_lshl_add_u64 v[4:5], v[4:5], 2, s[4:5]
	v_cmp_gt_u32_e32 vcc, s23, v0
	s_nop 1
	v_cndmask_b32_e32 v3, v5, v3, vcc
	v_cndmask_b32_e32 v2, v4, v2, vcc
	global_load_dword v2, v[2:3], off
	s_or_b64 exec, exec, s[2:3]
	v_cmp_gt_u32_e32 vcc, s21, v14
	s_and_saveexec_b64 s[2:3], vcc
	s_cbranch_execz .LBB3_6
.LBB3_107:
	v_mov_b32_e32 v15, 0
	v_lshl_add_u64 v[16:17], v[14:15], 2, s[0:1]
	v_cmp_gt_u32_e32 vcc, s23, v14
	v_subrev_u32_e32 v14, s23, v14
	v_lshl_add_u64 v[14:15], v[14:15], 2, s[4:5]
	v_cndmask_b32_e32 v15, v15, v17, vcc
	v_cndmask_b32_e32 v14, v14, v16, vcc
	global_load_dword v3, v[14:15], off
	s_or_b64 exec, exec, s[2:3]
	v_cmp_gt_u32_e32 vcc, s21, v12
	s_and_saveexec_b64 s[2:3], vcc
	s_cbranch_execnz .LBB3_7
	s_branch .LBB3_8
.LBB3_108:
	v_subrev_u32_e32 v16, s23, v0
	v_cmp_gt_u32_e32 vcc, s33, v16
                                        ; implicit-def: $vgpr14_vgpr15
	s_and_saveexec_b64 s[10:11], vcc
	s_xor_b64 s[10:11], exec, s[10:11]
; %bb.109:
	v_mov_b32_e32 v17, 0
	s_mov_b64 s[8:9], exec
	v_lshl_add_u64 v[14:15], s[6:7], 0, v[16:17]
; %bb.110:
	s_or_b64 exec, exec, s[10:11]
	s_and_b64 s[8:9], s[8:9], exec
	s_andn2_saveexec_b64 s[2:3], s[2:3]
	s_cbranch_execz .LBB3_34
.LBB3_111:
	s_or_b64 s[8:9], s[8:9], exec
	v_mov_b64_e32 v[14:15], v[12:13]
	s_or_b64 exec, exec, s[2:3]
	s_and_saveexec_b64 s[2:3], s[8:9]
	s_cbranch_execnz .LBB3_35
	s_branch .LBB3_36
.LBB3_112:
	ds_read_b32 v0, v12
	s_waitcnt lgkmcnt(0)
	global_store_dword v[2:3], v0, off
	s_or_b64 exec, exec, s[0:1]
	v_cmp_gt_u32_e32 vcc, s2, v11
	s_and_saveexec_b64 s[0:1], vcc
	s_cbranch_execz .LBB3_96
.LBB3_113:
	s_waitcnt lgkmcnt(6)
	global_store_dword v[2:3], v21, off offset:512
	s_or_b64 exec, exec, s[0:1]
	v_cmp_gt_u32_e32 vcc, s2, v9
	s_and_saveexec_b64 s[0:1], vcc
	s_cbranch_execz .LBB3_97
.LBB3_114:
	s_waitcnt lgkmcnt(5)
	global_store_dword v[2:3], v20, off offset:1024
	s_or_b64 exec, exec, s[0:1]
	v_cmp_gt_u32_e32 vcc, s2, v8
	s_and_saveexec_b64 s[0:1], vcc
	s_cbranch_execz .LBB3_98
.LBB3_115:
	s_waitcnt lgkmcnt(4)
	global_store_dword v[2:3], v15, off offset:1536
	s_or_b64 exec, exec, s[0:1]
	v_cmp_gt_u32_e32 vcc, s2, v6
	s_and_saveexec_b64 s[0:1], vcc
	s_cbranch_execz .LBB3_99
.LBB3_116:
	s_waitcnt lgkmcnt(3)
	global_store_dword v[2:3], v14, off offset:2048
	s_or_b64 exec, exec, s[0:1]
	v_cmp_gt_u32_e32 vcc, s2, v5
	s_and_saveexec_b64 s[0:1], vcc
	s_cbranch_execz .LBB3_100
.LBB3_117:
	s_waitcnt lgkmcnt(2)
	global_store_dword v[2:3], v13, off offset:2560
	s_or_b64 exec, exec, s[0:1]
	v_cmp_gt_u32_e32 vcc, s2, v4
	s_and_saveexec_b64 s[0:1], vcc
	s_cbranch_execnz .LBB3_101
	s_branch .LBB3_102
	.section	.rodata,"a",@progbits
	.p2align	6, 0x0
	.amdhsa_kernel _ZN7rocprim17ROCPRIM_304000_NS6detail35device_block_merge_mergepath_kernelINS1_37wrapped_merge_sort_block_merge_configINS0_14default_configEiN2at4cuda3cub6detail10OpaqueTypeILi1EEEEEPiSC_PSA_SD_jNS1_19radix_merge_compareILb1ELb0EiNS0_19identity_decomposerEEEEEvT0_T1_T2_T3_T4_SL_jT5_PKSL_NS1_7vsmem_tE
		.amdhsa_group_segment_fixed_size 4224
		.amdhsa_private_segment_fixed_size 0
		.amdhsa_kernarg_size 320
		.amdhsa_user_sgpr_count 2
		.amdhsa_user_sgpr_dispatch_ptr 0
		.amdhsa_user_sgpr_queue_ptr 0
		.amdhsa_user_sgpr_kernarg_segment_ptr 1
		.amdhsa_user_sgpr_dispatch_id 0
		.amdhsa_user_sgpr_kernarg_preload_length 0
		.amdhsa_user_sgpr_kernarg_preload_offset 0
		.amdhsa_user_sgpr_private_segment_size 0
		.amdhsa_uses_dynamic_stack 0
		.amdhsa_enable_private_segment 0
		.amdhsa_system_sgpr_workgroup_id_x 1
		.amdhsa_system_sgpr_workgroup_id_y 1
		.amdhsa_system_sgpr_workgroup_id_z 1
		.amdhsa_system_sgpr_workgroup_info 0
		.amdhsa_system_vgpr_workitem_id 0
		.amdhsa_next_free_vgpr 35
		.amdhsa_next_free_sgpr 34
		.amdhsa_accum_offset 36
		.amdhsa_reserve_vcc 1
		.amdhsa_float_round_mode_32 0
		.amdhsa_float_round_mode_16_64 0
		.amdhsa_float_denorm_mode_32 3
		.amdhsa_float_denorm_mode_16_64 3
		.amdhsa_dx10_clamp 1
		.amdhsa_ieee_mode 1
		.amdhsa_fp16_overflow 0
		.amdhsa_tg_split 0
		.amdhsa_exception_fp_ieee_invalid_op 0
		.amdhsa_exception_fp_denorm_src 0
		.amdhsa_exception_fp_ieee_div_zero 0
		.amdhsa_exception_fp_ieee_overflow 0
		.amdhsa_exception_fp_ieee_underflow 0
		.amdhsa_exception_fp_ieee_inexact 0
		.amdhsa_exception_int_div_zero 0
	.end_amdhsa_kernel
	.section	.text._ZN7rocprim17ROCPRIM_304000_NS6detail35device_block_merge_mergepath_kernelINS1_37wrapped_merge_sort_block_merge_configINS0_14default_configEiN2at4cuda3cub6detail10OpaqueTypeILi1EEEEEPiSC_PSA_SD_jNS1_19radix_merge_compareILb1ELb0EiNS0_19identity_decomposerEEEEEvT0_T1_T2_T3_T4_SL_jT5_PKSL_NS1_7vsmem_tE,"axG",@progbits,_ZN7rocprim17ROCPRIM_304000_NS6detail35device_block_merge_mergepath_kernelINS1_37wrapped_merge_sort_block_merge_configINS0_14default_configEiN2at4cuda3cub6detail10OpaqueTypeILi1EEEEEPiSC_PSA_SD_jNS1_19radix_merge_compareILb1ELb0EiNS0_19identity_decomposerEEEEEvT0_T1_T2_T3_T4_SL_jT5_PKSL_NS1_7vsmem_tE,comdat
.Lfunc_end3:
	.size	_ZN7rocprim17ROCPRIM_304000_NS6detail35device_block_merge_mergepath_kernelINS1_37wrapped_merge_sort_block_merge_configINS0_14default_configEiN2at4cuda3cub6detail10OpaqueTypeILi1EEEEEPiSC_PSA_SD_jNS1_19radix_merge_compareILb1ELb0EiNS0_19identity_decomposerEEEEEvT0_T1_T2_T3_T4_SL_jT5_PKSL_NS1_7vsmem_tE, .Lfunc_end3-_ZN7rocprim17ROCPRIM_304000_NS6detail35device_block_merge_mergepath_kernelINS1_37wrapped_merge_sort_block_merge_configINS0_14default_configEiN2at4cuda3cub6detail10OpaqueTypeILi1EEEEEPiSC_PSA_SD_jNS1_19radix_merge_compareILb1ELb0EiNS0_19identity_decomposerEEEEEvT0_T1_T2_T3_T4_SL_jT5_PKSL_NS1_7vsmem_tE
                                        ; -- End function
	.section	.AMDGPU.csdata,"",@progbits
; Kernel info:
; codeLenInByte = 5252
; NumSgprs: 40
; NumVgprs: 35
; NumAgprs: 0
; TotalNumVgprs: 35
; ScratchSize: 0
; MemoryBound: 0
; FloatMode: 240
; IeeeMode: 1
; LDSByteSize: 4224 bytes/workgroup (compile time only)
; SGPRBlocks: 4
; VGPRBlocks: 4
; NumSGPRsForWavesPerEU: 40
; NumVGPRsForWavesPerEU: 35
; AccumOffset: 36
; Occupancy: 8
; WaveLimiterHint : 1
; COMPUTE_PGM_RSRC2:SCRATCH_EN: 0
; COMPUTE_PGM_RSRC2:USER_SGPR: 2
; COMPUTE_PGM_RSRC2:TRAP_HANDLER: 0
; COMPUTE_PGM_RSRC2:TGID_X_EN: 1
; COMPUTE_PGM_RSRC2:TGID_Y_EN: 1
; COMPUTE_PGM_RSRC2:TGID_Z_EN: 1
; COMPUTE_PGM_RSRC2:TIDIG_COMP_CNT: 0
; COMPUTE_PGM_RSRC3_GFX90A:ACCUM_OFFSET: 8
; COMPUTE_PGM_RSRC3_GFX90A:TG_SPLIT: 0
	.section	.text._ZN7rocprim17ROCPRIM_304000_NS6detail33device_block_merge_oddeven_kernelINS1_37wrapped_merge_sort_block_merge_configINS0_14default_configEiN2at4cuda3cub6detail10OpaqueTypeILi1EEEEEPiSC_PSA_SD_jNS1_19radix_merge_compareILb1ELb0EiNS0_19identity_decomposerEEEEEvT0_T1_T2_T3_T4_SL_T5_,"axG",@progbits,_ZN7rocprim17ROCPRIM_304000_NS6detail33device_block_merge_oddeven_kernelINS1_37wrapped_merge_sort_block_merge_configINS0_14default_configEiN2at4cuda3cub6detail10OpaqueTypeILi1EEEEEPiSC_PSA_SD_jNS1_19radix_merge_compareILb1ELb0EiNS0_19identity_decomposerEEEEEvT0_T1_T2_T3_T4_SL_T5_,comdat
	.protected	_ZN7rocprim17ROCPRIM_304000_NS6detail33device_block_merge_oddeven_kernelINS1_37wrapped_merge_sort_block_merge_configINS0_14default_configEiN2at4cuda3cub6detail10OpaqueTypeILi1EEEEEPiSC_PSA_SD_jNS1_19radix_merge_compareILb1ELb0EiNS0_19identity_decomposerEEEEEvT0_T1_T2_T3_T4_SL_T5_ ; -- Begin function _ZN7rocprim17ROCPRIM_304000_NS6detail33device_block_merge_oddeven_kernelINS1_37wrapped_merge_sort_block_merge_configINS0_14default_configEiN2at4cuda3cub6detail10OpaqueTypeILi1EEEEEPiSC_PSA_SD_jNS1_19radix_merge_compareILb1ELb0EiNS0_19identity_decomposerEEEEEvT0_T1_T2_T3_T4_SL_T5_
	.globl	_ZN7rocprim17ROCPRIM_304000_NS6detail33device_block_merge_oddeven_kernelINS1_37wrapped_merge_sort_block_merge_configINS0_14default_configEiN2at4cuda3cub6detail10OpaqueTypeILi1EEEEEPiSC_PSA_SD_jNS1_19radix_merge_compareILb1ELb0EiNS0_19identity_decomposerEEEEEvT0_T1_T2_T3_T4_SL_T5_
	.p2align	8
	.type	_ZN7rocprim17ROCPRIM_304000_NS6detail33device_block_merge_oddeven_kernelINS1_37wrapped_merge_sort_block_merge_configINS0_14default_configEiN2at4cuda3cub6detail10OpaqueTypeILi1EEEEEPiSC_PSA_SD_jNS1_19radix_merge_compareILb1ELb0EiNS0_19identity_decomposerEEEEEvT0_T1_T2_T3_T4_SL_T5_,@function
_ZN7rocprim17ROCPRIM_304000_NS6detail33device_block_merge_oddeven_kernelINS1_37wrapped_merge_sort_block_merge_configINS0_14default_configEiN2at4cuda3cub6detail10OpaqueTypeILi1EEEEEPiSC_PSA_SD_jNS1_19radix_merge_compareILb1ELb0EiNS0_19identity_decomposerEEEEEvT0_T1_T2_T3_T4_SL_T5_: ; @_ZN7rocprim17ROCPRIM_304000_NS6detail33device_block_merge_oddeven_kernelINS1_37wrapped_merge_sort_block_merge_configINS0_14default_configEiN2at4cuda3cub6detail10OpaqueTypeILi1EEEEEPiSC_PSA_SD_jNS1_19radix_merge_compareILb1ELb0EiNS0_19identity_decomposerEEEEEvT0_T1_T2_T3_T4_SL_T5_
; %bb.0:
	s_load_dwordx2 s[6:7], s[0:1], 0x20
	s_waitcnt lgkmcnt(0)
	s_lshr_b32 s3, s6, 8
	s_cmp_lg_u32 s2, s3
	s_cselect_b64 s[8:9], -1, 0
	s_cmp_eq_u32 s2, s3
	s_cselect_b64 s[16:17], -1, 0
	s_lshl_b32 s18, s2, 8
	s_sub_i32 s3, s6, s18
	v_cmp_gt_u32_e64 s[4:5], s3, v0
	s_or_b64 s[8:9], s[8:9], s[4:5]
	s_and_saveexec_b64 s[10:11], s[8:9]
	s_cbranch_execz .LBB4_26
; %bb.1:
	s_load_dwordx8 s[8:15], s[0:1], 0x0
	s_mov_b32 s19, 0
	s_lshl_b64 s[0:1], s[18:19], 2
	v_lshlrev_b32_e32 v1, 2, v0
	v_add_u32_e32 v2, s18, v0
	s_waitcnt lgkmcnt(0)
	s_add_u32 s0, s8, s0
	s_addc_u32 s1, s9, s1
	s_add_u32 s12, s12, s18
	s_addc_u32 s13, s13, 0
	global_load_ubyte v4, v0, s[12:13]
	global_load_dword v5, v1, s[0:1]
	s_lshr_b32 s0, s7, 8
	s_sub_i32 s1, 0, s0
	s_and_b32 s1, s2, s1
	s_and_b32 s0, s1, s0
	s_lshl_b32 s21, s1, 8
	s_sub_i32 s12, 0, s7
	s_cmp_eq_u32 s0, 0
	s_cselect_b64 s[0:1], -1, 0
	s_and_b64 s[2:3], s[0:1], exec
	s_cselect_b32 s20, s7, s12
	s_add_i32 s20, s20, s21
	s_cmp_lt_u32 s20, s6
	s_cbranch_scc1 .LBB4_6
; %bb.2:
	s_and_b64 vcc, exec, s[16:17]
	s_cbranch_vccz .LBB4_7
; %bb.3:
	v_cmp_gt_u32_e32 vcc, s6, v2
	s_mov_b64 s[12:13], 0
	s_mov_b64 s[2:3], 0
                                        ; implicit-def: $vgpr0_vgpr1
	s_and_saveexec_b64 s[18:19], vcc
	s_cbranch_execz .LBB4_5
; %bb.4:
	v_mov_b32_e32 v3, 0
	s_mov_b64 s[2:3], exec
	v_lshl_add_u64 v[0:1], s[14:15], 0, v[2:3]
	v_lshl_add_u64 v[6:7], v[2:3], 2, s[10:11]
	s_waitcnt vmcnt(0)
	global_store_dword v[6:7], v5, off
.LBB4_5:
	s_or_b64 exec, exec, s[18:19]
	s_and_b64 vcc, exec, s[12:13]
	s_cbranch_vccnz .LBB4_8
	s_branch .LBB4_9
.LBB4_6:
	s_mov_b64 s[2:3], 0
                                        ; implicit-def: $vgpr0_vgpr1
	s_cbranch_execnz .LBB4_10
	s_branch .LBB4_24
.LBB4_7:
	s_mov_b64 s[2:3], 0
                                        ; implicit-def: $vgpr0_vgpr1
	s_cbranch_execz .LBB4_9
.LBB4_8:
	v_mov_b32_e32 v3, 0
	v_lshl_add_u64 v[0:1], v[2:3], 2, s[10:11]
	s_waitcnt vmcnt(0)
	global_store_dword v[0:1], v5, off
	v_lshl_add_u64 v[0:1], s[14:15], 0, v[2:3]
	s_or_b64 s[2:3], s[2:3], exec
.LBB4_9:
	s_branch .LBB4_24
.LBB4_10:
	s_min_u32 s12, s20, s6
	s_add_i32 s7, s12, s7
	s_min_u32 s13, s7, s6
	s_min_u32 s6, s21, s12
	s_add_i32 s21, s21, s12
	v_subrev_u32_e32 v0, s21, v2
	v_add_u32_e32 v2, s6, v0
	s_and_b64 vcc, exec, s[16:17]
	s_cbranch_vccz .LBB4_18
; %bb.11:
                                        ; implicit-def: $vgpr0_vgpr1
	s_and_saveexec_b64 s[6:7], s[4:5]
	s_cbranch_execz .LBB4_17
; %bb.12:
	s_cmp_ge_u32 s20, s13
	v_mov_b32_e32 v3, s12
	s_cbranch_scc1 .LBB4_16
; %bb.13:
	s_mov_b64 s[4:5], 0
	v_mov_b32_e32 v6, s13
	v_mov_b32_e32 v3, s12
	;; [unrolled: 1-line block ×3, first 2 shown]
.LBB4_14:                               ; =>This Inner Loop Header: Depth=1
	v_add_u32_e32 v0, v3, v6
	v_lshrrev_b32_e32 v0, 1, v0
	v_lshl_add_u64 v[8:9], v[0:1], 2, s[8:9]
	global_load_dword v7, v[8:9], off
	v_add_u32_e32 v8, 1, v0
	s_waitcnt vmcnt(0)
	v_cmp_gt_i32_e32 vcc, v7, v5
	s_nop 1
	v_cndmask_b32_e64 v9, 0, 1, vcc
	v_cmp_le_i32_e32 vcc, v5, v7
	s_nop 1
	v_cndmask_b32_e64 v7, 0, 1, vcc
	v_cndmask_b32_e64 v7, v7, v9, s[0:1]
	v_and_b32_e32 v7, 1, v7
	v_cmp_eq_u32_e32 vcc, 1, v7
	s_nop 1
	v_cndmask_b32_e32 v6, v0, v6, vcc
	v_cndmask_b32_e32 v3, v3, v8, vcc
	v_cmp_ge_u32_e32 vcc, v3, v6
	s_or_b64 s[4:5], vcc, s[4:5]
	s_andn2_b64 exec, exec, s[4:5]
	s_cbranch_execnz .LBB4_14
; %bb.15:
	s_or_b64 exec, exec, s[4:5]
.LBB4_16:
	v_add_u32_e32 v0, v3, v2
	v_mov_b32_e32 v1, 0
	v_lshl_add_u64 v[6:7], v[0:1], 2, s[10:11]
	s_waitcnt vmcnt(0)
	global_store_dword v[6:7], v5, off
	v_lshl_add_u64 v[0:1], s[14:15], 0, v[0:1]
	s_or_b64 s[2:3], s[2:3], exec
.LBB4_17:
	s_or_b64 exec, exec, s[6:7]
	s_branch .LBB4_24
.LBB4_18:
                                        ; implicit-def: $vgpr0_vgpr1
	s_cbranch_execz .LBB4_24
; %bb.19:
	s_cmp_ge_u32 s20, s13
	v_mov_b32_e32 v3, s12
	s_cbranch_scc1 .LBB4_23
; %bb.20:
	s_mov_b64 s[2:3], 0
	v_mov_b32_e32 v6, s13
	v_mov_b32_e32 v3, s12
	;; [unrolled: 1-line block ×3, first 2 shown]
.LBB4_21:                               ; =>This Inner Loop Header: Depth=1
	v_add_u32_e32 v0, v3, v6
	v_lshrrev_b32_e32 v0, 1, v0
	v_lshl_add_u64 v[8:9], v[0:1], 2, s[8:9]
	global_load_dword v7, v[8:9], off
	v_add_u32_e32 v8, 1, v0
	s_waitcnt vmcnt(0)
	v_cmp_gt_i32_e32 vcc, v7, v5
	s_nop 1
	v_cndmask_b32_e64 v9, 0, 1, vcc
	v_cmp_le_i32_e32 vcc, v5, v7
	s_nop 1
	v_cndmask_b32_e64 v7, 0, 1, vcc
	v_cndmask_b32_e64 v7, v7, v9, s[0:1]
	v_and_b32_e32 v7, 1, v7
	v_cmp_eq_u32_e32 vcc, 1, v7
	s_nop 1
	v_cndmask_b32_e32 v6, v0, v6, vcc
	v_cndmask_b32_e32 v3, v3, v8, vcc
	v_cmp_ge_u32_e32 vcc, v3, v6
	s_or_b64 s[2:3], vcc, s[2:3]
	s_andn2_b64 exec, exec, s[2:3]
	s_cbranch_execnz .LBB4_21
; %bb.22:
	s_or_b64 exec, exec, s[2:3]
.LBB4_23:
	v_add_u32_e32 v0, v3, v2
	v_mov_b32_e32 v1, 0
	v_lshl_add_u64 v[2:3], v[0:1], 2, s[10:11]
	v_lshl_add_u64 v[0:1], s[14:15], 0, v[0:1]
	s_mov_b64 s[2:3], -1
	s_waitcnt vmcnt(0)
	global_store_dword v[2:3], v5, off
.LBB4_24:
	s_and_b64 exec, exec, s[2:3]
	s_cbranch_execz .LBB4_26
; %bb.25:
	s_waitcnt vmcnt(1)
	global_store_byte v[0:1], v4, off
.LBB4_26:
	s_endpgm
	.section	.rodata,"a",@progbits
	.p2align	6, 0x0
	.amdhsa_kernel _ZN7rocprim17ROCPRIM_304000_NS6detail33device_block_merge_oddeven_kernelINS1_37wrapped_merge_sort_block_merge_configINS0_14default_configEiN2at4cuda3cub6detail10OpaqueTypeILi1EEEEEPiSC_PSA_SD_jNS1_19radix_merge_compareILb1ELb0EiNS0_19identity_decomposerEEEEEvT0_T1_T2_T3_T4_SL_T5_
		.amdhsa_group_segment_fixed_size 0
		.amdhsa_private_segment_fixed_size 0
		.amdhsa_kernarg_size 44
		.amdhsa_user_sgpr_count 2
		.amdhsa_user_sgpr_dispatch_ptr 0
		.amdhsa_user_sgpr_queue_ptr 0
		.amdhsa_user_sgpr_kernarg_segment_ptr 1
		.amdhsa_user_sgpr_dispatch_id 0
		.amdhsa_user_sgpr_kernarg_preload_length 0
		.amdhsa_user_sgpr_kernarg_preload_offset 0
		.amdhsa_user_sgpr_private_segment_size 0
		.amdhsa_uses_dynamic_stack 0
		.amdhsa_enable_private_segment 0
		.amdhsa_system_sgpr_workgroup_id_x 1
		.amdhsa_system_sgpr_workgroup_id_y 0
		.amdhsa_system_sgpr_workgroup_id_z 0
		.amdhsa_system_sgpr_workgroup_info 0
		.amdhsa_system_vgpr_workitem_id 0
		.amdhsa_next_free_vgpr 10
		.amdhsa_next_free_sgpr 22
		.amdhsa_accum_offset 12
		.amdhsa_reserve_vcc 1
		.amdhsa_float_round_mode_32 0
		.amdhsa_float_round_mode_16_64 0
		.amdhsa_float_denorm_mode_32 3
		.amdhsa_float_denorm_mode_16_64 3
		.amdhsa_dx10_clamp 1
		.amdhsa_ieee_mode 1
		.amdhsa_fp16_overflow 0
		.amdhsa_tg_split 0
		.amdhsa_exception_fp_ieee_invalid_op 0
		.amdhsa_exception_fp_denorm_src 0
		.amdhsa_exception_fp_ieee_div_zero 0
		.amdhsa_exception_fp_ieee_overflow 0
		.amdhsa_exception_fp_ieee_underflow 0
		.amdhsa_exception_fp_ieee_inexact 0
		.amdhsa_exception_int_div_zero 0
	.end_amdhsa_kernel
	.section	.text._ZN7rocprim17ROCPRIM_304000_NS6detail33device_block_merge_oddeven_kernelINS1_37wrapped_merge_sort_block_merge_configINS0_14default_configEiN2at4cuda3cub6detail10OpaqueTypeILi1EEEEEPiSC_PSA_SD_jNS1_19radix_merge_compareILb1ELb0EiNS0_19identity_decomposerEEEEEvT0_T1_T2_T3_T4_SL_T5_,"axG",@progbits,_ZN7rocprim17ROCPRIM_304000_NS6detail33device_block_merge_oddeven_kernelINS1_37wrapped_merge_sort_block_merge_configINS0_14default_configEiN2at4cuda3cub6detail10OpaqueTypeILi1EEEEEPiSC_PSA_SD_jNS1_19radix_merge_compareILb1ELb0EiNS0_19identity_decomposerEEEEEvT0_T1_T2_T3_T4_SL_T5_,comdat
.Lfunc_end4:
	.size	_ZN7rocprim17ROCPRIM_304000_NS6detail33device_block_merge_oddeven_kernelINS1_37wrapped_merge_sort_block_merge_configINS0_14default_configEiN2at4cuda3cub6detail10OpaqueTypeILi1EEEEEPiSC_PSA_SD_jNS1_19radix_merge_compareILb1ELb0EiNS0_19identity_decomposerEEEEEvT0_T1_T2_T3_T4_SL_T5_, .Lfunc_end4-_ZN7rocprim17ROCPRIM_304000_NS6detail33device_block_merge_oddeven_kernelINS1_37wrapped_merge_sort_block_merge_configINS0_14default_configEiN2at4cuda3cub6detail10OpaqueTypeILi1EEEEEPiSC_PSA_SD_jNS1_19radix_merge_compareILb1ELb0EiNS0_19identity_decomposerEEEEEvT0_T1_T2_T3_T4_SL_T5_
                                        ; -- End function
	.section	.AMDGPU.csdata,"",@progbits
; Kernel info:
; codeLenInByte = 752
; NumSgprs: 28
; NumVgprs: 10
; NumAgprs: 0
; TotalNumVgprs: 10
; ScratchSize: 0
; MemoryBound: 0
; FloatMode: 240
; IeeeMode: 1
; LDSByteSize: 0 bytes/workgroup (compile time only)
; SGPRBlocks: 3
; VGPRBlocks: 1
; NumSGPRsForWavesPerEU: 28
; NumVGPRsForWavesPerEU: 10
; AccumOffset: 12
; Occupancy: 8
; WaveLimiterHint : 0
; COMPUTE_PGM_RSRC2:SCRATCH_EN: 0
; COMPUTE_PGM_RSRC2:USER_SGPR: 2
; COMPUTE_PGM_RSRC2:TRAP_HANDLER: 0
; COMPUTE_PGM_RSRC2:TGID_X_EN: 1
; COMPUTE_PGM_RSRC2:TGID_Y_EN: 0
; COMPUTE_PGM_RSRC2:TGID_Z_EN: 0
; COMPUTE_PGM_RSRC2:TIDIG_COMP_CNT: 0
; COMPUTE_PGM_RSRC3_GFX90A:ACCUM_OFFSET: 2
; COMPUTE_PGM_RSRC3_GFX90A:TG_SPLIT: 0
	.section	.text._ZN7rocprim17ROCPRIM_304000_NS6detail16transform_kernelINS1_24wrapped_transform_configINS0_14default_configEiEEiPiS6_NS0_8identityIiEEEEvT1_mT2_T3_,"axG",@progbits,_ZN7rocprim17ROCPRIM_304000_NS6detail16transform_kernelINS1_24wrapped_transform_configINS0_14default_configEiEEiPiS6_NS0_8identityIiEEEEvT1_mT2_T3_,comdat
	.protected	_ZN7rocprim17ROCPRIM_304000_NS6detail16transform_kernelINS1_24wrapped_transform_configINS0_14default_configEiEEiPiS6_NS0_8identityIiEEEEvT1_mT2_T3_ ; -- Begin function _ZN7rocprim17ROCPRIM_304000_NS6detail16transform_kernelINS1_24wrapped_transform_configINS0_14default_configEiEEiPiS6_NS0_8identityIiEEEEvT1_mT2_T3_
	.globl	_ZN7rocprim17ROCPRIM_304000_NS6detail16transform_kernelINS1_24wrapped_transform_configINS0_14default_configEiEEiPiS6_NS0_8identityIiEEEEvT1_mT2_T3_
	.p2align	8
	.type	_ZN7rocprim17ROCPRIM_304000_NS6detail16transform_kernelINS1_24wrapped_transform_configINS0_14default_configEiEEiPiS6_NS0_8identityIiEEEEvT1_mT2_T3_,@function
_ZN7rocprim17ROCPRIM_304000_NS6detail16transform_kernelINS1_24wrapped_transform_configINS0_14default_configEiEEiPiS6_NS0_8identityIiEEEEvT1_mT2_T3_: ; @_ZN7rocprim17ROCPRIM_304000_NS6detail16transform_kernelINS1_24wrapped_transform_configINS0_14default_configEiEEiPiS6_NS0_8identityIiEEEEvT1_mT2_T3_
; %bb.0:
	s_load_dword s3, s[0:1], 0x20
	s_load_dwordx4 s[4:7], s[0:1], 0x0
	s_load_dwordx2 s[8:9], s[0:1], 0x10
	s_lshl_b32 s0, s2, 10
	s_mov_b32 s1, 0
	s_waitcnt lgkmcnt(0)
	s_add_i32 s3, s3, -1
	s_lshl_b64 s[10:11], s[0:1], 2
	s_add_u32 s4, s4, s10
	s_addc_u32 s5, s5, s11
	v_mov_b32_e32 v7, 0
	v_lshlrev_b32_e32 v6, 2, v0
	s_cmp_lg_u32 s2, s3
	v_lshl_add_u64 v[8:9], s[4:5], 0, v[6:7]
	s_cbranch_scc0 .LBB5_2
; %bb.1:
	global_load_dword v2, v[8:9], off
	global_load_dword v3, v[8:9], off offset:1024
	global_load_dword v4, v[8:9], off offset:2048
	;; [unrolled: 1-line block ×3, first 2 shown]
	s_add_u32 s4, s8, s10
	s_addc_u32 s5, s9, s11
	s_mov_b64 s[12:13], -1
	s_waitcnt vmcnt(3)
	global_store_dword v6, v2, s[4:5]
	s_waitcnt vmcnt(3)
	global_store_dword v6, v3, s[4:5] offset:1024
	s_waitcnt vmcnt(3)
	global_store_dword v6, v4, s[4:5] offset:2048
	s_cbranch_execz .LBB5_3
	s_branch .LBB5_17
.LBB5_2:
	s_mov_b64 s[12:13], 0
                                        ; implicit-def: $vgpr1
.LBB5_3:
	s_sub_i32 s6, s6, s0
	v_cmp_gt_u32_e32 vcc, s6, v0
                                        ; implicit-def: $vgpr2_vgpr3_vgpr4_vgpr5
	s_and_saveexec_b64 s[0:1], vcc
	s_cbranch_execz .LBB5_5
; %bb.4:
	global_load_dword v2, v[8:9], off
.LBB5_5:
	s_or_b64 exec, exec, s[0:1]
	s_waitcnt vmcnt(3)
	v_or_b32_e32 v1, 0x100, v0
	v_cmp_gt_u32_e64 s[0:1], s6, v1
	s_and_saveexec_b64 s[2:3], s[0:1]
	s_cbranch_execz .LBB5_7
; %bb.6:
	global_load_dword v3, v[8:9], off offset:1024
.LBB5_7:
	s_or_b64 exec, exec, s[2:3]
	v_or_b32_e32 v1, 0x200, v0
	v_cmp_gt_u32_e64 s[2:3], s6, v1
	s_and_saveexec_b64 s[4:5], s[2:3]
	s_cbranch_execz .LBB5_9
; %bb.8:
	global_load_dword v4, v[8:9], off offset:2048
.LBB5_9:
	s_or_b64 exec, exec, s[4:5]
	;; [unrolled: 8-line block ×3, first 2 shown]
	s_add_u32 s6, s8, s10
	s_addc_u32 s7, s9, s11
	v_mov_b32_e32 v7, 0
	v_lshl_add_u64 v[0:1], s[6:7], 0, v[6:7]
	s_and_saveexec_b64 s[6:7], vcc
	s_cbranch_execnz .LBB5_20
; %bb.12:
	s_or_b64 exec, exec, s[6:7]
	s_and_saveexec_b64 s[6:7], s[0:1]
	s_cbranch_execnz .LBB5_21
.LBB5_13:
	s_or_b64 exec, exec, s[6:7]
	s_and_saveexec_b64 s[0:1], s[2:3]
	s_cbranch_execnz .LBB5_22
.LBB5_14:
	s_or_b64 exec, exec, s[0:1]
                                        ; implicit-def: $vgpr1
	s_and_saveexec_b64 s[0:1], s[4:5]
	s_cbranch_execz .LBB5_16
.LBB5_15:
	s_waitcnt vmcnt(0)
	v_cndmask_b32_e64 v1, v5, v5, s[4:5]
	s_or_b64 s[12:13], s[12:13], exec
.LBB5_16:
	s_or_b64 exec, exec, s[0:1]
.LBB5_17:
	s_and_saveexec_b64 s[0:1], s[12:13]
	s_cbranch_execnz .LBB5_19
; %bb.18:
	s_endpgm
.LBB5_19:
	s_add_u32 s0, s8, s10
	s_addc_u32 s1, s9, s11
	s_waitcnt vmcnt(3)
	global_store_dword v6, v1, s[0:1] offset:3072
	s_endpgm
.LBB5_20:
	s_waitcnt vmcnt(0)
	global_store_dword v[0:1], v2, off
	s_or_b64 exec, exec, s[6:7]
	s_and_saveexec_b64 s[6:7], s[0:1]
	s_cbranch_execz .LBB5_13
.LBB5_21:
	s_waitcnt vmcnt(0)
	global_store_dword v[0:1], v3, off offset:1024
	s_or_b64 exec, exec, s[6:7]
	s_and_saveexec_b64 s[0:1], s[2:3]
	s_cbranch_execz .LBB5_14
.LBB5_22:
	s_waitcnt vmcnt(0)
	v_cndmask_b32_e64 v2, v4, v4, s[2:3]
	global_store_dword v[0:1], v2, off offset:2048
	s_or_b64 exec, exec, s[0:1]
                                        ; implicit-def: $vgpr1
	s_and_saveexec_b64 s[0:1], s[4:5]
	s_cbranch_execnz .LBB5_15
	s_branch .LBB5_16
	.section	.rodata,"a",@progbits
	.p2align	6, 0x0
	.amdhsa_kernel _ZN7rocprim17ROCPRIM_304000_NS6detail16transform_kernelINS1_24wrapped_transform_configINS0_14default_configEiEEiPiS6_NS0_8identityIiEEEEvT1_mT2_T3_
		.amdhsa_group_segment_fixed_size 0
		.amdhsa_private_segment_fixed_size 0
		.amdhsa_kernarg_size 288
		.amdhsa_user_sgpr_count 2
		.amdhsa_user_sgpr_dispatch_ptr 0
		.amdhsa_user_sgpr_queue_ptr 0
		.amdhsa_user_sgpr_kernarg_segment_ptr 1
		.amdhsa_user_sgpr_dispatch_id 0
		.amdhsa_user_sgpr_kernarg_preload_length 0
		.amdhsa_user_sgpr_kernarg_preload_offset 0
		.amdhsa_user_sgpr_private_segment_size 0
		.amdhsa_uses_dynamic_stack 0
		.amdhsa_enable_private_segment 0
		.amdhsa_system_sgpr_workgroup_id_x 1
		.amdhsa_system_sgpr_workgroup_id_y 0
		.amdhsa_system_sgpr_workgroup_id_z 0
		.amdhsa_system_sgpr_workgroup_info 0
		.amdhsa_system_vgpr_workitem_id 0
		.amdhsa_next_free_vgpr 10
		.amdhsa_next_free_sgpr 14
		.amdhsa_accum_offset 12
		.amdhsa_reserve_vcc 1
		.amdhsa_float_round_mode_32 0
		.amdhsa_float_round_mode_16_64 0
		.amdhsa_float_denorm_mode_32 3
		.amdhsa_float_denorm_mode_16_64 3
		.amdhsa_dx10_clamp 1
		.amdhsa_ieee_mode 1
		.amdhsa_fp16_overflow 0
		.amdhsa_tg_split 0
		.amdhsa_exception_fp_ieee_invalid_op 0
		.amdhsa_exception_fp_denorm_src 0
		.amdhsa_exception_fp_ieee_div_zero 0
		.amdhsa_exception_fp_ieee_overflow 0
		.amdhsa_exception_fp_ieee_underflow 0
		.amdhsa_exception_fp_ieee_inexact 0
		.amdhsa_exception_int_div_zero 0
	.end_amdhsa_kernel
	.section	.text._ZN7rocprim17ROCPRIM_304000_NS6detail16transform_kernelINS1_24wrapped_transform_configINS0_14default_configEiEEiPiS6_NS0_8identityIiEEEEvT1_mT2_T3_,"axG",@progbits,_ZN7rocprim17ROCPRIM_304000_NS6detail16transform_kernelINS1_24wrapped_transform_configINS0_14default_configEiEEiPiS6_NS0_8identityIiEEEEvT1_mT2_T3_,comdat
.Lfunc_end5:
	.size	_ZN7rocprim17ROCPRIM_304000_NS6detail16transform_kernelINS1_24wrapped_transform_configINS0_14default_configEiEEiPiS6_NS0_8identityIiEEEEvT1_mT2_T3_, .Lfunc_end5-_ZN7rocprim17ROCPRIM_304000_NS6detail16transform_kernelINS1_24wrapped_transform_configINS0_14default_configEiEEiPiS6_NS0_8identityIiEEEEvT1_mT2_T3_
                                        ; -- End function
	.section	.AMDGPU.csdata,"",@progbits
; Kernel info:
; codeLenInByte = 512
; NumSgprs: 20
; NumVgprs: 10
; NumAgprs: 0
; TotalNumVgprs: 10
; ScratchSize: 0
; MemoryBound: 0
; FloatMode: 240
; IeeeMode: 1
; LDSByteSize: 0 bytes/workgroup (compile time only)
; SGPRBlocks: 2
; VGPRBlocks: 1
; NumSGPRsForWavesPerEU: 20
; NumVGPRsForWavesPerEU: 10
; AccumOffset: 12
; Occupancy: 8
; WaveLimiterHint : 1
; COMPUTE_PGM_RSRC2:SCRATCH_EN: 0
; COMPUTE_PGM_RSRC2:USER_SGPR: 2
; COMPUTE_PGM_RSRC2:TRAP_HANDLER: 0
; COMPUTE_PGM_RSRC2:TGID_X_EN: 1
; COMPUTE_PGM_RSRC2:TGID_Y_EN: 0
; COMPUTE_PGM_RSRC2:TGID_Z_EN: 0
; COMPUTE_PGM_RSRC2:TIDIG_COMP_CNT: 0
; COMPUTE_PGM_RSRC3_GFX90A:ACCUM_OFFSET: 2
; COMPUTE_PGM_RSRC3_GFX90A:TG_SPLIT: 0
	.section	.text._ZN7rocprim17ROCPRIM_304000_NS6detail16transform_kernelINS1_24wrapped_transform_configINS0_14default_configEN2at4cuda3cub6detail10OpaqueTypeILi1EEEEESA_PSA_SC_NS0_8identityISA_EEEEvT1_mT2_T3_,"axG",@progbits,_ZN7rocprim17ROCPRIM_304000_NS6detail16transform_kernelINS1_24wrapped_transform_configINS0_14default_configEN2at4cuda3cub6detail10OpaqueTypeILi1EEEEESA_PSA_SC_NS0_8identityISA_EEEEvT1_mT2_T3_,comdat
	.protected	_ZN7rocprim17ROCPRIM_304000_NS6detail16transform_kernelINS1_24wrapped_transform_configINS0_14default_configEN2at4cuda3cub6detail10OpaqueTypeILi1EEEEESA_PSA_SC_NS0_8identityISA_EEEEvT1_mT2_T3_ ; -- Begin function _ZN7rocprim17ROCPRIM_304000_NS6detail16transform_kernelINS1_24wrapped_transform_configINS0_14default_configEN2at4cuda3cub6detail10OpaqueTypeILi1EEEEESA_PSA_SC_NS0_8identityISA_EEEEvT1_mT2_T3_
	.globl	_ZN7rocprim17ROCPRIM_304000_NS6detail16transform_kernelINS1_24wrapped_transform_configINS0_14default_configEN2at4cuda3cub6detail10OpaqueTypeILi1EEEEESA_PSA_SC_NS0_8identityISA_EEEEvT1_mT2_T3_
	.p2align	8
	.type	_ZN7rocprim17ROCPRIM_304000_NS6detail16transform_kernelINS1_24wrapped_transform_configINS0_14default_configEN2at4cuda3cub6detail10OpaqueTypeILi1EEEEESA_PSA_SC_NS0_8identityISA_EEEEvT1_mT2_T3_,@function
_ZN7rocprim17ROCPRIM_304000_NS6detail16transform_kernelINS1_24wrapped_transform_configINS0_14default_configEN2at4cuda3cub6detail10OpaqueTypeILi1EEEEESA_PSA_SC_NS0_8identityISA_EEEEvT1_mT2_T3_: ; @_ZN7rocprim17ROCPRIM_304000_NS6detail16transform_kernelINS1_24wrapped_transform_configINS0_14default_configEN2at4cuda3cub6detail10OpaqueTypeILi1EEEEESA_PSA_SC_NS0_8identityISA_EEEEvT1_mT2_T3_
; %bb.0:
	s_load_dword s3, s[0:1], 0x20
	s_load_dwordx4 s[4:7], s[0:1], 0x0
	s_load_dwordx2 s[28:29], s[0:1], 0x10
	s_lshl_b32 s33, s2, 12
	v_mov_b32_e32 v1, 0
	s_waitcnt lgkmcnt(0)
	s_add_i32 s3, s3, -1
	s_add_u32 s0, s4, s33
	s_addc_u32 s1, s5, 0
	s_cmp_lg_u32 s2, s3
	v_lshl_add_u64 v[2:3], s[0:1], 0, v[0:1]
	s_cbranch_scc0 .LBB6_2
; %bb.1:
	global_load_ubyte v7, v[2:3], off
	global_load_ubyte v8, v[2:3], off offset:256
	global_load_ubyte v9, v[2:3], off offset:512
	;; [unrolled: 1-line block ×15, first 2 shown]
	s_add_u32 s2, s28, s33
	s_addc_u32 s3, s29, 0
	v_lshl_add_u64 v[4:5], s[2:3], 0, v[0:1]
	s_mov_b64 s[30:31], -1
	s_waitcnt vmcnt(15)
	global_store_byte v[4:5], v7, off
	s_waitcnt vmcnt(15)
	global_store_byte v[4:5], v8, off offset:256
	s_waitcnt vmcnt(15)
	global_store_byte v[4:5], v9, off offset:512
	;; [unrolled: 2-line block ×14, first 2 shown]
	s_cbranch_execz .LBB6_3
	s_branch .LBB6_52
.LBB6_2:
	s_mov_b64 s[30:31], 0
                                        ; implicit-def: $vgpr6
.LBB6_3:
	s_sub_i32 s34, s6, s33
	v_cmp_gt_u32_e32 vcc, s34, v0
                                        ; implicit-def: $vgpr4
	s_and_saveexec_b64 s[0:1], vcc
	s_cbranch_execz .LBB6_5
; %bb.4:
	global_load_ubyte v4, v[2:3], off
.LBB6_5:
	s_or_b64 exec, exec, s[0:1]
	v_or_b32_e32 v5, 0x100, v0
	v_cmp_gt_u32_e64 s[0:1], s34, v5
                                        ; implicit-def: $vgpr5
	s_and_saveexec_b64 s[2:3], s[0:1]
	s_cbranch_execz .LBB6_7
; %bb.6:
	global_load_ubyte v5, v[2:3], off offset:256
.LBB6_7:
	s_or_b64 exec, exec, s[2:3]
	s_waitcnt vmcnt(15)
	v_or_b32_e32 v6, 0x200, v0
	v_cmp_gt_u32_e64 s[2:3], s34, v6
                                        ; implicit-def: $vgpr7
	s_and_saveexec_b64 s[4:5], s[2:3]
	s_cbranch_execz .LBB6_9
; %bb.8:
	global_load_ubyte v7, v[2:3], off offset:512
.LBB6_9:
	s_or_b64 exec, exec, s[4:5]
	v_or_b32_e32 v6, 0x300, v0
	v_cmp_gt_u32_e64 s[4:5], s34, v6
                                        ; implicit-def: $vgpr8
	s_and_saveexec_b64 s[6:7], s[4:5]
	s_cbranch_execz .LBB6_11
; %bb.10:
	global_load_ubyte v8, v[2:3], off offset:768
.LBB6_11:
	s_or_b64 exec, exec, s[6:7]
	v_or_b32_e32 v6, 0x400, v0
	v_cmp_gt_u32_e64 s[6:7], s34, v6
                                        ; implicit-def: $vgpr9
	s_and_saveexec_b64 s[8:9], s[6:7]
	s_cbranch_execz .LBB6_13
; %bb.12:
	global_load_ubyte v9, v[2:3], off offset:1024
.LBB6_13:
	s_or_b64 exec, exec, s[8:9]
	v_or_b32_e32 v6, 0x500, v0
	v_cmp_gt_u32_e64 s[8:9], s34, v6
                                        ; implicit-def: $vgpr10
	s_and_saveexec_b64 s[10:11], s[8:9]
	s_cbranch_execz .LBB6_15
; %bb.14:
	global_load_ubyte v10, v[2:3], off offset:1280
.LBB6_15:
	s_or_b64 exec, exec, s[10:11]
	v_or_b32_e32 v6, 0x600, v0
	v_cmp_gt_u32_e64 s[10:11], s34, v6
                                        ; implicit-def: $vgpr11
	s_and_saveexec_b64 s[12:13], s[10:11]
	s_cbranch_execz .LBB6_17
; %bb.16:
	global_load_ubyte v11, v[2:3], off offset:1536
.LBB6_17:
	s_or_b64 exec, exec, s[12:13]
	v_or_b32_e32 v6, 0x700, v0
	v_cmp_gt_u32_e64 s[12:13], s34, v6
                                        ; implicit-def: $vgpr12
	s_and_saveexec_b64 s[14:15], s[12:13]
	s_cbranch_execz .LBB6_19
; %bb.18:
	global_load_ubyte v12, v[2:3], off offset:1792
.LBB6_19:
	s_or_b64 exec, exec, s[14:15]
	v_or_b32_e32 v6, 0x800, v0
	v_cmp_gt_u32_e64 s[14:15], s34, v6
                                        ; implicit-def: $vgpr13
	s_and_saveexec_b64 s[16:17], s[14:15]
	s_cbranch_execz .LBB6_21
; %bb.20:
	global_load_ubyte v13, v[2:3], off offset:2048
.LBB6_21:
	s_or_b64 exec, exec, s[16:17]
	v_or_b32_e32 v6, 0x900, v0
	v_cmp_gt_u32_e64 s[16:17], s34, v6
                                        ; implicit-def: $vgpr14
	s_and_saveexec_b64 s[18:19], s[16:17]
	s_cbranch_execz .LBB6_23
; %bb.22:
	global_load_ubyte v14, v[2:3], off offset:2304
.LBB6_23:
	s_or_b64 exec, exec, s[18:19]
	v_or_b32_e32 v6, 0xa00, v0
	v_cmp_gt_u32_e64 s[18:19], s34, v6
                                        ; implicit-def: $vgpr15
	s_and_saveexec_b64 s[20:21], s[18:19]
	s_cbranch_execz .LBB6_25
; %bb.24:
	global_load_ubyte v15, v[2:3], off offset:2560
.LBB6_25:
	s_or_b64 exec, exec, s[20:21]
	v_or_b32_e32 v6, 0xb00, v0
	v_cmp_gt_u32_e64 s[20:21], s34, v6
                                        ; implicit-def: $vgpr16
	s_and_saveexec_b64 s[22:23], s[20:21]
	s_cbranch_execz .LBB6_27
; %bb.26:
	global_load_ubyte v16, v[2:3], off offset:2816
.LBB6_27:
	s_or_b64 exec, exec, s[22:23]
	v_or_b32_e32 v6, 0xc00, v0
	v_cmp_gt_u32_e64 s[22:23], s34, v6
                                        ; implicit-def: $vgpr17
	s_and_saveexec_b64 s[24:25], s[22:23]
	s_cbranch_execz .LBB6_29
; %bb.28:
	global_load_ubyte v17, v[2:3], off offset:3072
.LBB6_29:
	s_or_b64 exec, exec, s[24:25]
	v_or_b32_e32 v6, 0xd00, v0
	v_cmp_gt_u32_e64 s[24:25], s34, v6
                                        ; implicit-def: $vgpr18
	s_and_saveexec_b64 s[26:27], s[24:25]
	s_cbranch_execz .LBB6_31
; %bb.30:
	global_load_ubyte v18, v[2:3], off offset:3328
.LBB6_31:
	s_or_b64 exec, exec, s[26:27]
	v_or_b32_e32 v6, 0xe00, v0
	v_cmp_gt_u32_e64 s[26:27], s34, v6
                                        ; implicit-def: $vgpr19
	s_and_saveexec_b64 s[30:31], s[26:27]
	s_cbranch_execz .LBB6_33
; %bb.32:
	global_load_ubyte v19, v[2:3], off offset:3584
.LBB6_33:
	s_or_b64 exec, exec, s[30:31]
	v_or_b32_e32 v6, 0xf00, v0
	v_cmp_gt_u32_e64 s[30:31], s34, v6
                                        ; implicit-def: $vgpr6
	s_and_saveexec_b64 s[34:35], s[30:31]
	s_cbranch_execz .LBB6_35
; %bb.34:
	global_load_ubyte v6, v[2:3], off offset:3840
.LBB6_35:
	s_or_b64 exec, exec, s[34:35]
	s_add_u32 s34, s28, s33
	s_addc_u32 s35, s29, 0
	v_lshl_add_u64 v[2:3], s[34:35], 0, v[0:1]
	s_and_saveexec_b64 s[34:35], vcc
	s_xor_b64 s[34:35], exec, s[34:35]
	s_cbranch_execnz .LBB6_55
; %bb.36:
	s_or_b64 exec, exec, s[34:35]
	s_and_saveexec_b64 s[34:35], s[0:1]
	s_cbranch_execnz .LBB6_56
.LBB6_37:
	s_or_b64 exec, exec, s[34:35]
	s_and_saveexec_b64 s[0:1], s[2:3]
	s_cbranch_execnz .LBB6_57
.LBB6_38:
	s_or_b64 exec, exec, s[0:1]
	s_and_saveexec_b64 s[0:1], s[4:5]
	s_cbranch_execnz .LBB6_58
.LBB6_39:
	s_or_b64 exec, exec, s[0:1]
	s_and_saveexec_b64 s[0:1], s[6:7]
	s_cbranch_execnz .LBB6_59
.LBB6_40:
	s_or_b64 exec, exec, s[0:1]
	s_and_saveexec_b64 s[0:1], s[8:9]
	s_cbranch_execnz .LBB6_60
.LBB6_41:
	s_or_b64 exec, exec, s[0:1]
	s_and_saveexec_b64 s[0:1], s[10:11]
	s_cbranch_execnz .LBB6_61
.LBB6_42:
	s_or_b64 exec, exec, s[0:1]
	s_and_saveexec_b64 s[0:1], s[12:13]
	s_cbranch_execnz .LBB6_62
.LBB6_43:
	s_or_b64 exec, exec, s[0:1]
	s_and_saveexec_b64 s[0:1], s[14:15]
	s_cbranch_execnz .LBB6_63
.LBB6_44:
	s_or_b64 exec, exec, s[0:1]
	s_and_saveexec_b64 s[0:1], s[16:17]
	s_cbranch_execnz .LBB6_64
.LBB6_45:
	s_or_b64 exec, exec, s[0:1]
	s_and_saveexec_b64 s[0:1], s[18:19]
	s_cbranch_execnz .LBB6_65
.LBB6_46:
	s_or_b64 exec, exec, s[0:1]
	s_and_saveexec_b64 s[0:1], s[20:21]
	s_cbranch_execnz .LBB6_66
.LBB6_47:
	s_or_b64 exec, exec, s[0:1]
	s_and_saveexec_b64 s[0:1], s[22:23]
	s_cbranch_execnz .LBB6_67
.LBB6_48:
	s_or_b64 exec, exec, s[0:1]
	s_and_saveexec_b64 s[0:1], s[24:25]
	s_cbranch_execnz .LBB6_68
.LBB6_49:
	s_or_b64 exec, exec, s[0:1]
	s_and_saveexec_b64 s[0:1], s[26:27]
	s_cbranch_execz .LBB6_51
.LBB6_50:
	s_waitcnt vmcnt(0)
	global_store_byte v[2:3], v19, off offset:3584
.LBB6_51:
	s_or_b64 exec, exec, s[0:1]
.LBB6_52:
	s_and_saveexec_b64 s[0:1], s[30:31]
	s_cbranch_execnz .LBB6_54
; %bb.53:
	s_endpgm
.LBB6_54:
	s_add_u32 s0, s28, s33
	s_addc_u32 s1, s29, 0
	v_lshl_add_u64 v[0:1], s[0:1], 0, v[0:1]
	s_waitcnt vmcnt(0)
	global_store_byte v[0:1], v6, off offset:3840
	s_endpgm
.LBB6_55:
	s_waitcnt vmcnt(0)
	global_store_byte v[2:3], v4, off
	s_or_b64 exec, exec, s[34:35]
	s_and_saveexec_b64 s[34:35], s[0:1]
	s_cbranch_execz .LBB6_37
.LBB6_56:
	s_waitcnt vmcnt(0)
	global_store_byte v[2:3], v5, off offset:256
	s_or_b64 exec, exec, s[34:35]
	s_and_saveexec_b64 s[0:1], s[2:3]
	s_cbranch_execz .LBB6_38
.LBB6_57:
	s_waitcnt vmcnt(0)
	global_store_byte v[2:3], v7, off offset:512
	s_or_b64 exec, exec, s[0:1]
	s_and_saveexec_b64 s[0:1], s[4:5]
	s_cbranch_execz .LBB6_39
.LBB6_58:
	s_waitcnt vmcnt(0)
	global_store_byte v[2:3], v8, off offset:768
	s_or_b64 exec, exec, s[0:1]
	s_and_saveexec_b64 s[0:1], s[6:7]
	s_cbranch_execz .LBB6_40
.LBB6_59:
	s_waitcnt vmcnt(0)
	global_store_byte v[2:3], v9, off offset:1024
	s_or_b64 exec, exec, s[0:1]
	s_and_saveexec_b64 s[0:1], s[8:9]
	s_cbranch_execz .LBB6_41
.LBB6_60:
	s_waitcnt vmcnt(0)
	global_store_byte v[2:3], v10, off offset:1280
	s_or_b64 exec, exec, s[0:1]
	s_and_saveexec_b64 s[0:1], s[10:11]
	s_cbranch_execz .LBB6_42
.LBB6_61:
	s_waitcnt vmcnt(0)
	global_store_byte v[2:3], v11, off offset:1536
	s_or_b64 exec, exec, s[0:1]
	s_and_saveexec_b64 s[0:1], s[12:13]
	s_cbranch_execz .LBB6_43
.LBB6_62:
	s_waitcnt vmcnt(0)
	global_store_byte v[2:3], v12, off offset:1792
	s_or_b64 exec, exec, s[0:1]
	s_and_saveexec_b64 s[0:1], s[14:15]
	s_cbranch_execz .LBB6_44
.LBB6_63:
	s_waitcnt vmcnt(0)
	global_store_byte v[2:3], v13, off offset:2048
	s_or_b64 exec, exec, s[0:1]
	s_and_saveexec_b64 s[0:1], s[16:17]
	s_cbranch_execz .LBB6_45
.LBB6_64:
	s_waitcnt vmcnt(0)
	global_store_byte v[2:3], v14, off offset:2304
	s_or_b64 exec, exec, s[0:1]
	s_and_saveexec_b64 s[0:1], s[18:19]
	s_cbranch_execz .LBB6_46
.LBB6_65:
	s_waitcnt vmcnt(0)
	global_store_byte v[2:3], v15, off offset:2560
	s_or_b64 exec, exec, s[0:1]
	s_and_saveexec_b64 s[0:1], s[20:21]
	s_cbranch_execz .LBB6_47
.LBB6_66:
	s_waitcnt vmcnt(0)
	global_store_byte v[2:3], v16, off offset:2816
	s_or_b64 exec, exec, s[0:1]
	s_and_saveexec_b64 s[0:1], s[22:23]
	s_cbranch_execz .LBB6_48
.LBB6_67:
	s_waitcnt vmcnt(0)
	global_store_byte v[2:3], v17, off offset:3072
	s_or_b64 exec, exec, s[0:1]
	s_and_saveexec_b64 s[0:1], s[24:25]
	s_cbranch_execz .LBB6_49
.LBB6_68:
	s_waitcnt vmcnt(0)
	global_store_byte v[2:3], v18, off offset:3328
	s_or_b64 exec, exec, s[0:1]
	s_and_saveexec_b64 s[0:1], s[26:27]
	s_cbranch_execnz .LBB6_50
	s_branch .LBB6_51
	.section	.rodata,"a",@progbits
	.p2align	6, 0x0
	.amdhsa_kernel _ZN7rocprim17ROCPRIM_304000_NS6detail16transform_kernelINS1_24wrapped_transform_configINS0_14default_configEN2at4cuda3cub6detail10OpaqueTypeILi1EEEEESA_PSA_SC_NS0_8identityISA_EEEEvT1_mT2_T3_
		.amdhsa_group_segment_fixed_size 0
		.amdhsa_private_segment_fixed_size 0
		.amdhsa_kernarg_size 288
		.amdhsa_user_sgpr_count 2
		.amdhsa_user_sgpr_dispatch_ptr 0
		.amdhsa_user_sgpr_queue_ptr 0
		.amdhsa_user_sgpr_kernarg_segment_ptr 1
		.amdhsa_user_sgpr_dispatch_id 0
		.amdhsa_user_sgpr_kernarg_preload_length 0
		.amdhsa_user_sgpr_kernarg_preload_offset 0
		.amdhsa_user_sgpr_private_segment_size 0
		.amdhsa_uses_dynamic_stack 0
		.amdhsa_enable_private_segment 0
		.amdhsa_system_sgpr_workgroup_id_x 1
		.amdhsa_system_sgpr_workgroup_id_y 0
		.amdhsa_system_sgpr_workgroup_id_z 0
		.amdhsa_system_sgpr_workgroup_info 0
		.amdhsa_system_vgpr_workitem_id 0
		.amdhsa_next_free_vgpr 22
		.amdhsa_next_free_sgpr 36
		.amdhsa_accum_offset 24
		.amdhsa_reserve_vcc 1
		.amdhsa_float_round_mode_32 0
		.amdhsa_float_round_mode_16_64 0
		.amdhsa_float_denorm_mode_32 3
		.amdhsa_float_denorm_mode_16_64 3
		.amdhsa_dx10_clamp 1
		.amdhsa_ieee_mode 1
		.amdhsa_fp16_overflow 0
		.amdhsa_tg_split 0
		.amdhsa_exception_fp_ieee_invalid_op 0
		.amdhsa_exception_fp_denorm_src 0
		.amdhsa_exception_fp_ieee_div_zero 0
		.amdhsa_exception_fp_ieee_overflow 0
		.amdhsa_exception_fp_ieee_underflow 0
		.amdhsa_exception_fp_ieee_inexact 0
		.amdhsa_exception_int_div_zero 0
	.end_amdhsa_kernel
	.section	.text._ZN7rocprim17ROCPRIM_304000_NS6detail16transform_kernelINS1_24wrapped_transform_configINS0_14default_configEN2at4cuda3cub6detail10OpaqueTypeILi1EEEEESA_PSA_SC_NS0_8identityISA_EEEEvT1_mT2_T3_,"axG",@progbits,_ZN7rocprim17ROCPRIM_304000_NS6detail16transform_kernelINS1_24wrapped_transform_configINS0_14default_configEN2at4cuda3cub6detail10OpaqueTypeILi1EEEEESA_PSA_SC_NS0_8identityISA_EEEEvT1_mT2_T3_,comdat
.Lfunc_end6:
	.size	_ZN7rocprim17ROCPRIM_304000_NS6detail16transform_kernelINS1_24wrapped_transform_configINS0_14default_configEN2at4cuda3cub6detail10OpaqueTypeILi1EEEEESA_PSA_SC_NS0_8identityISA_EEEEvT1_mT2_T3_, .Lfunc_end6-_ZN7rocprim17ROCPRIM_304000_NS6detail16transform_kernelINS1_24wrapped_transform_configINS0_14default_configEN2at4cuda3cub6detail10OpaqueTypeILi1EEEEESA_PSA_SC_NS0_8identityISA_EEEEvT1_mT2_T3_
                                        ; -- End function
	.section	.AMDGPU.csdata,"",@progbits
; Kernel info:
; codeLenInByte = 1572
; NumSgprs: 42
; NumVgprs: 22
; NumAgprs: 0
; TotalNumVgprs: 22
; ScratchSize: 0
; MemoryBound: 0
; FloatMode: 240
; IeeeMode: 1
; LDSByteSize: 0 bytes/workgroup (compile time only)
; SGPRBlocks: 5
; VGPRBlocks: 2
; NumSGPRsForWavesPerEU: 42
; NumVGPRsForWavesPerEU: 22
; AccumOffset: 24
; Occupancy: 8
; WaveLimiterHint : 1
; COMPUTE_PGM_RSRC2:SCRATCH_EN: 0
; COMPUTE_PGM_RSRC2:USER_SGPR: 2
; COMPUTE_PGM_RSRC2:TRAP_HANDLER: 0
; COMPUTE_PGM_RSRC2:TGID_X_EN: 1
; COMPUTE_PGM_RSRC2:TGID_Y_EN: 0
; COMPUTE_PGM_RSRC2:TGID_Z_EN: 0
; COMPUTE_PGM_RSRC2:TIDIG_COMP_CNT: 0
; COMPUTE_PGM_RSRC3_GFX90A:ACCUM_OFFSET: 5
; COMPUTE_PGM_RSRC3_GFX90A:TG_SPLIT: 0
	.section	.text._ZN7rocprim17ROCPRIM_304000_NS6detail45device_block_merge_mergepath_partition_kernelINS1_37wrapped_merge_sort_block_merge_configINS0_14default_configEiN2at4cuda3cub6detail10OpaqueTypeILi1EEEEEPijNS1_19radix_merge_compareILb1ELb1EiNS0_19identity_decomposerEEEEEvT0_T1_jPSH_T2_SH_,"axG",@progbits,_ZN7rocprim17ROCPRIM_304000_NS6detail45device_block_merge_mergepath_partition_kernelINS1_37wrapped_merge_sort_block_merge_configINS0_14default_configEiN2at4cuda3cub6detail10OpaqueTypeILi1EEEEEPijNS1_19radix_merge_compareILb1ELb1EiNS0_19identity_decomposerEEEEEvT0_T1_jPSH_T2_SH_,comdat
	.protected	_ZN7rocprim17ROCPRIM_304000_NS6detail45device_block_merge_mergepath_partition_kernelINS1_37wrapped_merge_sort_block_merge_configINS0_14default_configEiN2at4cuda3cub6detail10OpaqueTypeILi1EEEEEPijNS1_19radix_merge_compareILb1ELb1EiNS0_19identity_decomposerEEEEEvT0_T1_jPSH_T2_SH_ ; -- Begin function _ZN7rocprim17ROCPRIM_304000_NS6detail45device_block_merge_mergepath_partition_kernelINS1_37wrapped_merge_sort_block_merge_configINS0_14default_configEiN2at4cuda3cub6detail10OpaqueTypeILi1EEEEEPijNS1_19radix_merge_compareILb1ELb1EiNS0_19identity_decomposerEEEEEvT0_T1_jPSH_T2_SH_
	.globl	_ZN7rocprim17ROCPRIM_304000_NS6detail45device_block_merge_mergepath_partition_kernelINS1_37wrapped_merge_sort_block_merge_configINS0_14default_configEiN2at4cuda3cub6detail10OpaqueTypeILi1EEEEEPijNS1_19radix_merge_compareILb1ELb1EiNS0_19identity_decomposerEEEEEvT0_T1_jPSH_T2_SH_
	.p2align	8
	.type	_ZN7rocprim17ROCPRIM_304000_NS6detail45device_block_merge_mergepath_partition_kernelINS1_37wrapped_merge_sort_block_merge_configINS0_14default_configEiN2at4cuda3cub6detail10OpaqueTypeILi1EEEEEPijNS1_19radix_merge_compareILb1ELb1EiNS0_19identity_decomposerEEEEEvT0_T1_jPSH_T2_SH_,@function
_ZN7rocprim17ROCPRIM_304000_NS6detail45device_block_merge_mergepath_partition_kernelINS1_37wrapped_merge_sort_block_merge_configINS0_14default_configEiN2at4cuda3cub6detail10OpaqueTypeILi1EEEEEPijNS1_19radix_merge_compareILb1ELb1EiNS0_19identity_decomposerEEEEEvT0_T1_jPSH_T2_SH_: ; @_ZN7rocprim17ROCPRIM_304000_NS6detail45device_block_merge_mergepath_partition_kernelINS1_37wrapped_merge_sort_block_merge_configINS0_14default_configEiN2at4cuda3cub6detail10OpaqueTypeILi1EEEEEPijNS1_19radix_merge_compareILb1ELb1EiNS0_19identity_decomposerEEEEEvT0_T1_jPSH_T2_SH_
; %bb.0:
	s_load_dwordx2 s[4:5], s[0:1], 0x8
	v_lshl_or_b32 v0, s2, 7, v0
	s_waitcnt lgkmcnt(0)
	v_cmp_gt_u32_e32 vcc, s5, v0
	s_and_saveexec_b64 s[2:3], vcc
	s_cbranch_execz .LBB7_6
; %bb.1:
	s_load_dwordx2 s[2:3], s[0:1], 0x18
	s_waitcnt lgkmcnt(0)
	s_lshr_b32 s5, s3, 9
	s_and_b32 s5, s5, 0x7ffffe
	s_add_i32 s6, s5, -1
	s_sub_i32 s5, 0, s5
	v_and_b32_e32 v1, s5, v0
	v_and_b32_e32 v2, s6, v0
	v_lshlrev_b32_e32 v1, 10, v1
	v_lshlrev_b32_e32 v3, 10, v2
	v_min_u32_e32 v2, s4, v1
	v_add_u32_e32 v1, s3, v1
	v_min_u32_e32 v4, s4, v1
	v_add_u32_e32 v1, s3, v4
	v_min_u32_e32 v1, s4, v1
	v_sub_u32_e32 v5, v1, v2
	v_min_u32_e32 v10, v5, v3
	v_sub_u32_e32 v3, v4, v2
	v_sub_u32_e32 v1, v1, v4
	v_sub_u32_e64 v1, v10, v1 clamp
	v_min_u32_e32 v11, v10, v3
	v_cmp_lt_u32_e32 vcc, v1, v11
	s_and_saveexec_b64 s[4:5], vcc
	s_cbranch_execz .LBB7_5
; %bb.2:
	s_load_dwordx2 s[6:7], s[0:1], 0x0
	v_mov_b32_e32 v5, 0
	v_mov_b32_e32 v3, v5
	s_waitcnt lgkmcnt(0)
	v_lshl_add_u64 v[6:7], v[2:3], 2, s[6:7]
	v_lshl_add_u64 v[8:9], v[4:5], 2, s[6:7]
	s_mov_b64 s[6:7], 0
.LBB7_3:                                ; =>This Inner Loop Header: Depth=1
	v_add_u32_e32 v3, v11, v1
	v_lshrrev_b32_e32 v4, 1, v3
	v_mov_b32_e32 v13, v5
	v_xad_u32 v12, v4, -1, v10
	v_lshl_add_u64 v[14:15], v[4:5], 2, v[6:7]
	v_lshl_add_u64 v[12:13], v[12:13], 2, v[8:9]
	global_load_dword v3, v[14:15], off
	global_load_dword v16, v[12:13], off
	v_add_u32_e32 v12, 1, v4
	s_waitcnt vmcnt(1)
	v_and_b32_e32 v3, s2, v3
	s_waitcnt vmcnt(0)
	v_and_b32_e32 v13, s2, v16
	v_cmp_gt_i32_e32 vcc, v13, v3
	s_nop 1
	v_cndmask_b32_e32 v11, v11, v4, vcc
	v_cndmask_b32_e32 v1, v12, v1, vcc
	v_cmp_ge_u32_e32 vcc, v1, v11
	s_or_b64 s[6:7], vcc, s[6:7]
	s_andn2_b64 exec, exec, s[6:7]
	s_cbranch_execnz .LBB7_3
; %bb.4:
	s_or_b64 exec, exec, s[6:7]
.LBB7_5:
	s_or_b64 exec, exec, s[4:5]
	s_load_dwordx2 s[0:1], s[0:1], 0x10
	v_add_u32_e32 v2, v1, v2
	v_mov_b32_e32 v1, 0
	s_waitcnt lgkmcnt(0)
	v_lshl_add_u64 v[0:1], v[0:1], 2, s[0:1]
	global_store_dword v[0:1], v2, off
.LBB7_6:
	s_endpgm
	.section	.rodata,"a",@progbits
	.p2align	6, 0x0
	.amdhsa_kernel _ZN7rocprim17ROCPRIM_304000_NS6detail45device_block_merge_mergepath_partition_kernelINS1_37wrapped_merge_sort_block_merge_configINS0_14default_configEiN2at4cuda3cub6detail10OpaqueTypeILi1EEEEEPijNS1_19radix_merge_compareILb1ELb1EiNS0_19identity_decomposerEEEEEvT0_T1_jPSH_T2_SH_
		.amdhsa_group_segment_fixed_size 0
		.amdhsa_private_segment_fixed_size 0
		.amdhsa_kernarg_size 32
		.amdhsa_user_sgpr_count 2
		.amdhsa_user_sgpr_dispatch_ptr 0
		.amdhsa_user_sgpr_queue_ptr 0
		.amdhsa_user_sgpr_kernarg_segment_ptr 1
		.amdhsa_user_sgpr_dispatch_id 0
		.amdhsa_user_sgpr_kernarg_preload_length 0
		.amdhsa_user_sgpr_kernarg_preload_offset 0
		.amdhsa_user_sgpr_private_segment_size 0
		.amdhsa_uses_dynamic_stack 0
		.amdhsa_enable_private_segment 0
		.amdhsa_system_sgpr_workgroup_id_x 1
		.amdhsa_system_sgpr_workgroup_id_y 0
		.amdhsa_system_sgpr_workgroup_id_z 0
		.amdhsa_system_sgpr_workgroup_info 0
		.amdhsa_system_vgpr_workitem_id 0
		.amdhsa_next_free_vgpr 17
		.amdhsa_next_free_sgpr 8
		.amdhsa_accum_offset 20
		.amdhsa_reserve_vcc 1
		.amdhsa_float_round_mode_32 0
		.amdhsa_float_round_mode_16_64 0
		.amdhsa_float_denorm_mode_32 3
		.amdhsa_float_denorm_mode_16_64 3
		.amdhsa_dx10_clamp 1
		.amdhsa_ieee_mode 1
		.amdhsa_fp16_overflow 0
		.amdhsa_tg_split 0
		.amdhsa_exception_fp_ieee_invalid_op 0
		.amdhsa_exception_fp_denorm_src 0
		.amdhsa_exception_fp_ieee_div_zero 0
		.amdhsa_exception_fp_ieee_overflow 0
		.amdhsa_exception_fp_ieee_underflow 0
		.amdhsa_exception_fp_ieee_inexact 0
		.amdhsa_exception_int_div_zero 0
	.end_amdhsa_kernel
	.section	.text._ZN7rocprim17ROCPRIM_304000_NS6detail45device_block_merge_mergepath_partition_kernelINS1_37wrapped_merge_sort_block_merge_configINS0_14default_configEiN2at4cuda3cub6detail10OpaqueTypeILi1EEEEEPijNS1_19radix_merge_compareILb1ELb1EiNS0_19identity_decomposerEEEEEvT0_T1_jPSH_T2_SH_,"axG",@progbits,_ZN7rocprim17ROCPRIM_304000_NS6detail45device_block_merge_mergepath_partition_kernelINS1_37wrapped_merge_sort_block_merge_configINS0_14default_configEiN2at4cuda3cub6detail10OpaqueTypeILi1EEEEEPijNS1_19radix_merge_compareILb1ELb1EiNS0_19identity_decomposerEEEEEvT0_T1_jPSH_T2_SH_,comdat
.Lfunc_end7:
	.size	_ZN7rocprim17ROCPRIM_304000_NS6detail45device_block_merge_mergepath_partition_kernelINS1_37wrapped_merge_sort_block_merge_configINS0_14default_configEiN2at4cuda3cub6detail10OpaqueTypeILi1EEEEEPijNS1_19radix_merge_compareILb1ELb1EiNS0_19identity_decomposerEEEEEvT0_T1_jPSH_T2_SH_, .Lfunc_end7-_ZN7rocprim17ROCPRIM_304000_NS6detail45device_block_merge_mergepath_partition_kernelINS1_37wrapped_merge_sort_block_merge_configINS0_14default_configEiN2at4cuda3cub6detail10OpaqueTypeILi1EEEEEPijNS1_19radix_merge_compareILb1ELb1EiNS0_19identity_decomposerEEEEEvT0_T1_jPSH_T2_SH_
                                        ; -- End function
	.section	.AMDGPU.csdata,"",@progbits
; Kernel info:
; codeLenInByte = 332
; NumSgprs: 14
; NumVgprs: 17
; NumAgprs: 0
; TotalNumVgprs: 17
; ScratchSize: 0
; MemoryBound: 0
; FloatMode: 240
; IeeeMode: 1
; LDSByteSize: 0 bytes/workgroup (compile time only)
; SGPRBlocks: 1
; VGPRBlocks: 2
; NumSGPRsForWavesPerEU: 14
; NumVGPRsForWavesPerEU: 17
; AccumOffset: 20
; Occupancy: 8
; WaveLimiterHint : 0
; COMPUTE_PGM_RSRC2:SCRATCH_EN: 0
; COMPUTE_PGM_RSRC2:USER_SGPR: 2
; COMPUTE_PGM_RSRC2:TRAP_HANDLER: 0
; COMPUTE_PGM_RSRC2:TGID_X_EN: 1
; COMPUTE_PGM_RSRC2:TGID_Y_EN: 0
; COMPUTE_PGM_RSRC2:TGID_Z_EN: 0
; COMPUTE_PGM_RSRC2:TIDIG_COMP_CNT: 0
; COMPUTE_PGM_RSRC3_GFX90A:ACCUM_OFFSET: 4
; COMPUTE_PGM_RSRC3_GFX90A:TG_SPLIT: 0
	.section	.text._ZN7rocprim17ROCPRIM_304000_NS6detail35device_block_merge_mergepath_kernelINS1_37wrapped_merge_sort_block_merge_configINS0_14default_configEiN2at4cuda3cub6detail10OpaqueTypeILi1EEEEEPiSC_PSA_SD_jNS1_19radix_merge_compareILb1ELb1EiNS0_19identity_decomposerEEEEEvT0_T1_T2_T3_T4_SL_jT5_PKSL_NS1_7vsmem_tE,"axG",@progbits,_ZN7rocprim17ROCPRIM_304000_NS6detail35device_block_merge_mergepath_kernelINS1_37wrapped_merge_sort_block_merge_configINS0_14default_configEiN2at4cuda3cub6detail10OpaqueTypeILi1EEEEEPiSC_PSA_SD_jNS1_19radix_merge_compareILb1ELb1EiNS0_19identity_decomposerEEEEEvT0_T1_T2_T3_T4_SL_jT5_PKSL_NS1_7vsmem_tE,comdat
	.protected	_ZN7rocprim17ROCPRIM_304000_NS6detail35device_block_merge_mergepath_kernelINS1_37wrapped_merge_sort_block_merge_configINS0_14default_configEiN2at4cuda3cub6detail10OpaqueTypeILi1EEEEEPiSC_PSA_SD_jNS1_19radix_merge_compareILb1ELb1EiNS0_19identity_decomposerEEEEEvT0_T1_T2_T3_T4_SL_jT5_PKSL_NS1_7vsmem_tE ; -- Begin function _ZN7rocprim17ROCPRIM_304000_NS6detail35device_block_merge_mergepath_kernelINS1_37wrapped_merge_sort_block_merge_configINS0_14default_configEiN2at4cuda3cub6detail10OpaqueTypeILi1EEEEEPiSC_PSA_SD_jNS1_19radix_merge_compareILb1ELb1EiNS0_19identity_decomposerEEEEEvT0_T1_T2_T3_T4_SL_jT5_PKSL_NS1_7vsmem_tE
	.globl	_ZN7rocprim17ROCPRIM_304000_NS6detail35device_block_merge_mergepath_kernelINS1_37wrapped_merge_sort_block_merge_configINS0_14default_configEiN2at4cuda3cub6detail10OpaqueTypeILi1EEEEEPiSC_PSA_SD_jNS1_19radix_merge_compareILb1ELb1EiNS0_19identity_decomposerEEEEEvT0_T1_T2_T3_T4_SL_jT5_PKSL_NS1_7vsmem_tE
	.p2align	8
	.type	_ZN7rocprim17ROCPRIM_304000_NS6detail35device_block_merge_mergepath_kernelINS1_37wrapped_merge_sort_block_merge_configINS0_14default_configEiN2at4cuda3cub6detail10OpaqueTypeILi1EEEEEPiSC_PSA_SD_jNS1_19radix_merge_compareILb1ELb1EiNS0_19identity_decomposerEEEEEvT0_T1_T2_T3_T4_SL_jT5_PKSL_NS1_7vsmem_tE,@function
_ZN7rocprim17ROCPRIM_304000_NS6detail35device_block_merge_mergepath_kernelINS1_37wrapped_merge_sort_block_merge_configINS0_14default_configEiN2at4cuda3cub6detail10OpaqueTypeILi1EEEEEPiSC_PSA_SD_jNS1_19radix_merge_compareILb1ELb1EiNS0_19identity_decomposerEEEEEvT0_T1_T2_T3_T4_SL_jT5_PKSL_NS1_7vsmem_tE: ; @_ZN7rocprim17ROCPRIM_304000_NS6detail35device_block_merge_mergepath_kernelINS1_37wrapped_merge_sort_block_merge_configINS0_14default_configEiN2at4cuda3cub6detail10OpaqueTypeILi1EEEEEPiSC_PSA_SD_jNS1_19radix_merge_compareILb1ELb1EiNS0_19identity_decomposerEEEEEvT0_T1_T2_T3_T4_SL_jT5_PKSL_NS1_7vsmem_tE
; %bb.0:
	s_load_dwordx2 s[10:11], s[0:1], 0x40
	s_load_dwordx4 s[20:23], s[0:1], 0x20
	s_add_u32 s8, s0, 64
	s_addc_u32 s9, s1, 0
	s_waitcnt lgkmcnt(0)
	s_mul_i32 s4, s11, s4
	s_add_i32 s3, s4, s3
	s_mul_i32 s3, s3, s10
	s_add_i32 s6, s3, s2
	s_cmp_ge_u32 s6, s22
	s_cbranch_scc1 .LBB8_105
; %bb.1:
	s_load_dwordx8 s[12:19], s[0:1], 0x0
	s_load_dwordx2 s[4:5], s[0:1], 0x30
	s_lshr_b32 s11, s20, 10
	s_cmp_lg_u32 s6, s11
	s_mov_b32 s7, 0
	s_cselect_b64 s[24:25], -1, 0
	s_lshl_b64 s[0:1], s[6:7], 2
	s_waitcnt lgkmcnt(0)
	s_add_u32 s0, s4, s0
	s_addc_u32 s1, s5, s1
	s_load_dwordx2 s[26:27], s[0:1], 0x0
	s_lshr_b32 s0, s21, 9
	s_and_b32 s0, s0, 0x7ffffe
	s_sub_i32 s0, 0, s0
	s_and_b32 s1, s6, s0
	s_lshl_b32 s3, s1, 10
	s_lshl_b32 s22, s6, 10
	;; [unrolled: 1-line block ×3, first 2 shown]
	s_sub_i32 s4, s22, s3
	s_add_i32 s1, s1, s21
	s_add_i32 s4, s1, s4
	s_waitcnt lgkmcnt(0)
	s_sub_i32 s5, s4, s26
	s_sub_i32 s4, s4, s27
	;; [unrolled: 1-line block ×3, first 2 shown]
	s_min_u32 s28, s20, s5
	s_addk_i32 s4, 0x400
	s_or_b32 s0, s6, s0
	s_min_u32 s3, s20, s1
	s_add_i32 s1, s1, s21
	s_cmp_eq_u32 s0, -1
	s_cselect_b32 s0, s1, s4
	s_cselect_b32 s1, s3, s27
	s_min_u32 s0, s0, s20
	s_mov_b32 s27, s7
	s_sub_i32 s33, s1, s26
	s_sub_i32 s34, s0, s28
	s_lshl_b64 s[0:1], s[26:27], 2
	s_add_u32 s0, s12, s0
	s_mov_b32 s29, s7
	s_addc_u32 s1, s13, s1
	s_lshl_b64 s[4:5], s[28:29], 2
	s_add_u32 s4, s12, s4
	s_addc_u32 s5, s13, s5
	s_cmp_lt_u32 s2, s10
	v_mov_b32_e32 v11, 0
	s_cselect_b32 s2, 12, 18
	global_load_dword v1, v11, s[8:9] offset:14
	s_add_u32 s2, s8, s2
	s_addc_u32 s3, s9, 0
	global_load_ushort v2, v11, s[2:3]
	v_cmp_gt_u32_e32 vcc, s33, v0
	s_cmp_eq_u32 s6, s11
	v_lshlrev_b32_e32 v10, 2, v0
	s_waitcnt vmcnt(1)
	v_lshrrev_b32_e32 v3, 16, v1
	v_and_b32_e32 v1, 0xffff, v1
	v_mul_lo_u32 v1, v1, v3
	s_waitcnt vmcnt(0)
	v_mul_lo_u32 v1, v1, v2
	v_add_u32_e32 v14, v1, v0
	v_add_u32_e32 v12, v14, v1
	s_cbranch_scc1 .LBB8_3
; %bb.2:
	v_subrev_u32_e32 v4, s33, v0
	v_mov_b32_e32 v5, v11
	v_lshl_add_u64 v[2:3], s[0:1], 0, v[10:11]
	v_lshl_add_u64 v[4:5], v[4:5], 2, s[4:5]
	v_mov_b32_e32 v15, v11
	v_subrev_u32_e32 v6, s33, v14
	v_mov_b32_e32 v7, v11
	v_cndmask_b32_e32 v3, v5, v3, vcc
	v_cndmask_b32_e32 v2, v4, v2, vcc
	v_lshl_add_u64 v[4:5], v[14:15], 2, s[0:1]
	v_lshl_add_u64 v[6:7], v[6:7], 2, s[4:5]
	v_cmp_gt_u32_e32 vcc, s33, v14
	v_mov_b32_e32 v13, v11
	global_load_dword v2, v[2:3], off
	v_cndmask_b32_e32 v5, v7, v5, vcc
	v_cndmask_b32_e32 v4, v6, v4, vcc
	v_subrev_u32_e32 v6, s33, v12
	v_mov_b32_e32 v7, v11
	global_load_dword v3, v[4:5], off
	v_lshl_add_u64 v[4:5], v[12:13], 2, s[0:1]
	v_lshl_add_u64 v[6:7], v[6:7], 2, s[4:5]
	v_cmp_gt_u32_e32 vcc, s33, v12
	v_mov_b32_e32 v17, v11
	v_mov_b32_e32 v19, v11
	v_cndmask_b32_e32 v4, v6, v4, vcc
	v_add_u32_e32 v6, v12, v1
	v_cndmask_b32_e32 v5, v7, v5, vcc
	v_mov_b32_e32 v7, v11
	v_subrev_u32_e32 v16, s33, v6
	v_lshl_add_u64 v[8:9], v[6:7], 2, s[0:1]
	v_lshl_add_u64 v[16:17], v[16:17], 2, s[4:5]
	v_cmp_gt_u32_e32 vcc, s33, v6
	global_load_dword v4, v[4:5], off
	v_mov_b32_e32 v21, v11
	v_cndmask_b32_e32 v9, v17, v9, vcc
	v_cndmask_b32_e32 v8, v16, v8, vcc
	global_load_dword v5, v[8:9], off
	v_add_u32_e32 v8, v6, v1
	v_mov_b32_e32 v9, v11
	v_lshl_add_u64 v[6:7], v[8:9], 2, s[0:1]
	v_subrev_u32_e32 v16, s33, v8
	v_mov_b32_e32 v17, v11
	v_cmp_gt_u32_e32 vcc, s33, v8
	v_add_u32_e32 v8, v8, v1
	v_lshl_add_u64 v[16:17], v[16:17], 2, s[4:5]
	v_subrev_u32_e32 v18, s33, v8
	v_cndmask_b32_e32 v7, v17, v7, vcc
	v_cndmask_b32_e32 v6, v16, v6, vcc
	v_lshl_add_u64 v[16:17], v[8:9], 2, s[0:1]
	v_lshl_add_u64 v[18:19], v[18:19], 2, s[4:5]
	v_cmp_gt_u32_e32 vcc, s33, v8
	global_load_dword v6, v[6:7], off
	s_add_i32 s21, s34, s33
	v_cndmask_b32_e32 v17, v19, v17, vcc
	v_cndmask_b32_e32 v16, v18, v16, vcc
	global_load_dword v7, v[16:17], off
	v_add_u32_e32 v16, v8, v1
	v_mov_b32_e32 v17, v11
	v_lshl_add_u64 v[8:9], v[16:17], 2, s[0:1]
	v_subrev_u32_e32 v18, s33, v16
	v_mov_b32_e32 v19, v11
	v_cmp_gt_u32_e32 vcc, s33, v16
	v_add_u32_e32 v16, v16, v1
	v_lshl_add_u64 v[18:19], v[18:19], 2, s[4:5]
	v_subrev_u32_e32 v20, s33, v16
	v_cndmask_b32_e32 v9, v19, v9, vcc
	v_cndmask_b32_e32 v8, v18, v8, vcc
	v_lshl_add_u64 v[18:19], v[16:17], 2, s[0:1]
	v_lshl_add_u64 v[20:21], v[20:21], 2, s[4:5]
	v_cmp_gt_u32_e32 vcc, s33, v16
	global_load_dword v8, v[8:9], off
	s_nop 0
	v_cndmask_b32_e32 v17, v21, v19, vcc
	v_cndmask_b32_e32 v16, v20, v18, vcc
	global_load_dword v9, v[16:17], off
	s_cbranch_execz .LBB8_4
	s_branch .LBB8_19
.LBB8_3:
                                        ; implicit-def: $vgpr2_vgpr3_vgpr4_vgpr5_vgpr6_vgpr7_vgpr8_vgpr9
                                        ; implicit-def: $sgpr21
.LBB8_4:
	s_add_i32 s21, s34, s33
	v_cmp_gt_u32_e32 vcc, s21, v0
                                        ; implicit-def: $vgpr2_vgpr3_vgpr4_vgpr5_vgpr6_vgpr7_vgpr8_vgpr9
	s_and_saveexec_b64 s[2:3], vcc
	s_cbranch_execnz .LBB8_106
; %bb.5:
	s_or_b64 exec, exec, s[2:3]
	v_cmp_gt_u32_e32 vcc, s21, v14
	s_and_saveexec_b64 s[2:3], vcc
	s_cbranch_execnz .LBB8_107
.LBB8_6:
	s_or_b64 exec, exec, s[2:3]
	v_cmp_gt_u32_e32 vcc, s21, v12
	s_and_saveexec_b64 s[2:3], vcc
	s_cbranch_execz .LBB8_8
.LBB8_7:
	v_mov_b32_e32 v13, 0
	v_subrev_u32_e32 v16, s33, v12
	v_mov_b32_e32 v17, v13
	v_lshl_add_u64 v[14:15], v[12:13], 2, s[0:1]
	v_lshl_add_u64 v[16:17], v[16:17], 2, s[4:5]
	v_cmp_gt_u32_e32 vcc, s33, v12
	s_nop 1
	v_cndmask_b32_e32 v15, v17, v15, vcc
	v_cndmask_b32_e32 v14, v16, v14, vcc
	global_load_dword v4, v[14:15], off
.LBB8_8:
	s_or_b64 exec, exec, s[2:3]
	v_add_u32_e32 v12, v12, v1
	v_cmp_gt_u32_e32 vcc, s21, v12
	s_and_saveexec_b64 s[2:3], vcc
	s_cbranch_execz .LBB8_10
; %bb.9:
	v_mov_b32_e32 v13, 0
	v_subrev_u32_e32 v16, s33, v12
	v_mov_b32_e32 v17, v13
	v_lshl_add_u64 v[14:15], v[12:13], 2, s[0:1]
	v_lshl_add_u64 v[16:17], v[16:17], 2, s[4:5]
	v_cmp_gt_u32_e32 vcc, s33, v12
	s_nop 1
	v_cndmask_b32_e32 v15, v17, v15, vcc
	v_cndmask_b32_e32 v14, v16, v14, vcc
	global_load_dword v5, v[14:15], off
.LBB8_10:
	s_or_b64 exec, exec, s[2:3]
	v_add_u32_e32 v12, v12, v1
	v_cmp_gt_u32_e32 vcc, s21, v12
	s_and_saveexec_b64 s[2:3], vcc
	s_cbranch_execz .LBB8_12
; %bb.11:
	v_mov_b32_e32 v13, 0
	v_subrev_u32_e32 v16, s33, v12
	v_mov_b32_e32 v17, v13
	v_lshl_add_u64 v[14:15], v[12:13], 2, s[0:1]
	v_lshl_add_u64 v[16:17], v[16:17], 2, s[4:5]
	v_cmp_gt_u32_e32 vcc, s33, v12
	s_nop 1
	v_cndmask_b32_e32 v15, v17, v15, vcc
	v_cndmask_b32_e32 v14, v16, v14, vcc
	global_load_dword v6, v[14:15], off
.LBB8_12:
	;; [unrolled: 17-line block ×4, first 2 shown]
	s_or_b64 exec, exec, s[2:3]
	v_add_u32_e32 v12, v12, v1
	v_cmp_gt_u32_e32 vcc, s21, v12
	s_and_saveexec_b64 s[2:3], vcc
	s_cbranch_execz .LBB8_18
; %bb.17:
	v_mov_b32_e32 v13, 0
	v_lshl_add_u64 v[14:15], v[12:13], 2, s[0:1]
	v_cmp_gt_u32_e32 vcc, s33, v12
	v_subrev_u32_e32 v12, s33, v12
	v_lshl_add_u64 v[12:13], v[12:13], 2, s[4:5]
	v_cndmask_b32_e32 v13, v13, v15, vcc
	v_cndmask_b32_e32 v12, v12, v14, vcc
	global_load_dword v9, v[12:13], off
.LBB8_18:
	s_or_b64 exec, exec, s[2:3]
.LBB8_19:
	v_lshlrev_b32_e32 v11, 3, v0
	v_min_u32_e32 v1, s21, v11
	v_sub_u32_e64 v12, v1, s34 clamp
	v_min_u32_e32 v13, s33, v1
	v_cmp_lt_u32_e32 vcc, v12, v13
	s_waitcnt vmcnt(0)
	ds_write2st64_b32 v10, v2, v3 offset1:2
	ds_write2st64_b32 v10, v4, v5 offset0:4 offset1:6
	ds_write2st64_b32 v10, v6, v7 offset0:8 offset1:10
	;; [unrolled: 1-line block ×3, first 2 shown]
	s_waitcnt lgkmcnt(0)
	s_barrier
	s_and_saveexec_b64 s[0:1], vcc
	s_cbranch_execz .LBB8_23
; %bb.20:
	v_lshlrev_b32_e32 v14, 2, v1
	v_lshl_add_u32 v14, s33, 2, v14
	s_mov_b64 s[2:3], 0
.LBB8_21:                               ; =>This Inner Loop Header: Depth=1
	v_add_u32_e32 v15, v13, v12
	v_lshrrev_b32_e32 v15, 1, v15
	v_not_b32_e32 v16, v15
	v_lshlrev_b32_e32 v17, 2, v15
	v_lshl_add_u32 v16, v16, 2, v14
	ds_read_b32 v17, v17
	ds_read_b32 v16, v16
	v_add_u32_e32 v18, 1, v15
	s_waitcnt lgkmcnt(1)
	v_and_b32_e32 v17, s23, v17
	s_waitcnt lgkmcnt(0)
	v_and_b32_e32 v16, s23, v16
	v_cmp_gt_i32_e32 vcc, v16, v17
	s_nop 1
	v_cndmask_b32_e32 v13, v13, v15, vcc
	v_cndmask_b32_e32 v12, v18, v12, vcc
	v_cmp_ge_u32_e32 vcc, v12, v13
	s_or_b64 s[2:3], vcc, s[2:3]
	s_andn2_b64 exec, exec, s[2:3]
	s_cbranch_execnz .LBB8_21
; %bb.22:
	s_or_b64 exec, exec, s[2:3]
.LBB8_23:
	s_or_b64 exec, exec, s[0:1]
	v_sub_u32_e32 v1, v1, v12
	v_add_u32_e32 v13, s33, v1
	v_cmp_ge_u32_e32 vcc, s33, v12
	v_cmp_ge_u32_e64 s[0:1], s21, v13
	s_or_b64 s[0:1], vcc, s[0:1]
                                        ; implicit-def: $vgpr22
                                        ; implicit-def: $vgpr25
                                        ; implicit-def: $vgpr24
                                        ; implicit-def: $vgpr23
                                        ; implicit-def: $vgpr21
                                        ; implicit-def: $vgpr20
                                        ; implicit-def: $vgpr19
                                        ; implicit-def: $vgpr18
	s_and_saveexec_b64 s[30:31], s[0:1]
	s_cbranch_execz .LBB8_29
; %bb.24:
	v_cmp_gt_u32_e32 vcc, s33, v12
                                        ; implicit-def: $vgpr1
	s_and_saveexec_b64 s[0:1], vcc
	s_cbranch_execz .LBB8_26
; %bb.25:
	v_lshlrev_b32_e32 v1, 2, v12
	ds_read_b32 v1, v1
.LBB8_26:
	s_or_b64 exec, exec, s[0:1]
	v_cmp_le_u32_e64 s[0:1], s21, v13
	v_cmp_gt_u32_e64 s[2:3], s21, v13
                                        ; implicit-def: $vgpr2
	s_and_saveexec_b64 s[4:5], s[2:3]
	s_cbranch_execz .LBB8_28
; %bb.27:
	v_lshlrev_b32_e32 v2, 2, v13
	ds_read_b32 v2, v2
.LBB8_28:
	s_or_b64 exec, exec, s[4:5]
	s_waitcnt lgkmcnt(0)
	v_and_b32_e32 v3, s23, v2
	v_and_b32_e32 v4, s23, v1
	v_cmp_le_i32_e64 s[2:3], v3, v4
	s_and_b64 s[2:3], vcc, s[2:3]
	s_or_b64 vcc, s[0:1], s[2:3]
	v_mov_b32_e32 v5, s21
	v_mov_b32_e32 v6, s33
	v_cndmask_b32_e32 v18, v13, v12, vcc
	v_cndmask_b32_e32 v3, v5, v6, vcc
	v_add_u32_e32 v4, 1, v18
	v_add_u32_e32 v3, -1, v3
	v_min_u32_e32 v3, v4, v3
	v_lshlrev_b32_e32 v3, 2, v3
	ds_read_b32 v3, v3
	v_cndmask_b32_e32 v8, v4, v13, vcc
	v_cndmask_b32_e32 v4, v12, v4, vcc
	v_cmp_gt_u32_e64 s[2:3], s33, v4
	v_cmp_le_u32_e64 s[0:1], s21, v8
	s_waitcnt lgkmcnt(0)
	v_cndmask_b32_e32 v7, v3, v2, vcc
	v_cndmask_b32_e32 v3, v1, v3, vcc
	v_and_b32_e32 v9, s23, v7
	v_and_b32_e32 v12, s23, v3
	v_cmp_le_i32_e64 s[4:5], v9, v12
	s_and_b64 s[2:3], s[2:3], s[4:5]
	s_or_b64 s[0:1], s[0:1], s[2:3]
	v_cndmask_b32_e64 v19, v8, v4, s[0:1]
	v_cndmask_b32_e64 v9, v5, v6, s[0:1]
	v_add_u32_e32 v12, 1, v19
	v_add_u32_e32 v9, -1, v9
	v_min_u32_e32 v9, v12, v9
	v_lshlrev_b32_e32 v9, 2, v9
	ds_read_b32 v9, v9
	v_cndmask_b32_e64 v8, v12, v8, s[0:1]
	v_cndmask_b32_e64 v4, v4, v12, s[0:1]
	v_cmp_gt_u32_e64 s[4:5], s33, v4
	v_cmp_le_u32_e64 s[2:3], s21, v8
	s_waitcnt lgkmcnt(0)
	v_cndmask_b32_e64 v13, v9, v7, s[0:1]
	v_cndmask_b32_e64 v9, v3, v9, s[0:1]
	v_and_b32_e32 v12, s23, v13
	v_and_b32_e32 v14, s23, v9
	v_cmp_le_i32_e64 s[6:7], v12, v14
	s_and_b64 s[4:5], s[4:5], s[6:7]
	s_or_b64 s[2:3], s[2:3], s[4:5]
	v_cndmask_b32_e64 v20, v8, v4, s[2:3]
	v_cndmask_b32_e64 v12, v5, v6, s[2:3]
	v_add_u32_e32 v14, 1, v20
	v_add_u32_e32 v12, -1, v12
	v_min_u32_e32 v12, v14, v12
	v_lshlrev_b32_e32 v12, 2, v12
	ds_read_b32 v12, v12
	v_cndmask_b32_e64 v8, v14, v8, s[2:3]
	v_cndmask_b32_e64 v4, v4, v14, s[2:3]
	v_cmp_gt_u32_e64 s[6:7], s33, v4
	v_cmp_le_u32_e64 s[4:5], s21, v8
	s_waitcnt lgkmcnt(0)
	v_cndmask_b32_e64 v15, v12, v13, s[2:3]
	v_cndmask_b32_e64 v12, v9, v12, s[2:3]
	;; [unrolled: 19-line block ×4, first 2 shown]
	v_and_b32_e32 v4, s23, v26
	v_and_b32_e32 v24, s23, v16
	v_cmp_le_i32_e64 s[12:13], v4, v24
	s_and_b64 s[10:11], s[10:11], s[12:13]
	s_or_b64 s[8:9], s[8:9], s[10:11]
	v_cndmask_b32_e64 v24, v8, v22, s[8:9]
	v_cndmask_b32_e64 v4, v5, v6, s[8:9]
	v_add_u32_e32 v25, 1, v24
	v_add_u32_e32 v4, -1, v4
	v_min_u32_e32 v4, v25, v4
	v_lshlrev_b32_e32 v4, 2, v4
	ds_read_b32 v27, v4
	v_cndmask_b32_e32 v2, v2, v1, vcc
	v_cndmask_b32_e64 v4, v13, v9, s[2:3]
	v_cndmask_b32_e64 v3, v7, v3, s[0:1]
	;; [unrolled: 1-line block ×3, first 2 shown]
	s_waitcnt lgkmcnt(0)
	v_cndmask_b32_e64 v1, v27, v26, s[8:9]
	v_cndmask_b32_e64 v9, v16, v27, s[8:9]
	;; [unrolled: 1-line block ×3, first 2 shown]
	v_and_b32_e32 v7, s23, v1
	v_and_b32_e32 v8, s23, v9
	v_cmp_gt_u32_e64 s[0:1], s33, v22
	v_cmp_le_i32_e64 s[2:3], v7, v8
	v_cmp_le_u32_e32 vcc, s21, v13
	s_and_b64 s[0:1], s[0:1], s[2:3]
	s_or_b64 vcc, vcc, s[0:1]
	v_cndmask_b32_e32 v25, v13, v22, vcc
	v_cndmask_b32_e32 v5, v5, v6, vcc
	v_add_u32_e32 v27, 1, v25
	v_add_u32_e32 v5, -1, v5
	v_min_u32_e32 v5, v27, v5
	v_lshlrev_b32_e32 v5, 2, v5
	ds_read_b32 v28, v5
	v_cndmask_b32_e32 v8, v1, v9, vcc
	v_cndmask_b32_e64 v5, v15, v12, s[4:5]
	v_cndmask_b32_e64 v6, v17, v14, s[6:7]
	v_cndmask_b32_e32 v12, v27, v13, vcc
	s_waitcnt lgkmcnt(0)
	v_cndmask_b32_e32 v1, v28, v1, vcc
	v_cndmask_b32_e32 v9, v9, v28, vcc
	;; [unrolled: 1-line block ×3, first 2 shown]
	v_and_b32_e32 v14, s23, v1
	v_and_b32_e32 v15, s23, v9
	v_cmp_gt_u32_e64 s[0:1], s33, v13
	v_cmp_le_i32_e64 s[2:3], v14, v15
	v_cmp_le_u32_e32 vcc, s21, v12
	s_and_b64 s[0:1], s[0:1], s[2:3]
	s_or_b64 vcc, vcc, s[0:1]
	v_cndmask_b32_e64 v7, v26, v16, s[8:9]
	v_cndmask_b32_e32 v22, v12, v13, vcc
	v_cndmask_b32_e32 v9, v1, v9, vcc
.LBB8_29:
	s_or_b64 exec, exec, s[30:31]
	s_add_u32 s8, s16, s26
	s_addc_u32 s9, s17, 0
	v_mov_b32_e32 v1, 0
	s_add_u32 s6, s16, s28
	v_cndmask_b32_e64 v12, 0, 1, s[24:25]
	s_addc_u32 s7, s17, 0
	v_cmp_gt_u32_e64 s[4:5], s33, v0
	v_cmp_le_u32_e64 s[2:3], s33, v0
	v_cmp_ne_u32_e64 s[0:1], 1, v12
	s_andn2_b64 vcc, exec, s[24:25]
	v_lshl_add_u64 v[12:13], s[8:9], 0, v[0:1]
	s_barrier
	s_cbranch_vccnz .LBB8_31
; %bb.30:
	v_subrev_u32_e32 v14, s33, v0
	v_mov_b32_e32 v15, v1
	v_lshl_add_u64 v[14:15], s[6:7], 0, v[14:15]
	v_lshl_add_u64 v[26:27], s[8:9], 0, v[0:1]
	v_or_b32_e32 v29, 0x80, v0
	v_cndmask_b32_e64 v15, v15, v27, s[4:5]
	v_cndmask_b32_e64 v14, v14, v26, s[4:5]
	s_mov_b64 s[4:5], 0x80
	v_subrev_u32_e32 v16, s33, v29
	v_mov_b32_e32 v17, v1
	global_load_ubyte v28, v[14:15], off
	v_lshl_add_u64 v[14:15], v[26:27], 0, s[4:5]
	v_lshl_add_u64 v[16:17], s[6:7], 0, v[16:17]
	v_cmp_gt_u32_e32 vcc, s33, v29
	v_or_b32_e32 v30, 0x100, v0
	s_mov_b64 s[4:5], 0x100
	v_cndmask_b32_e32 v15, v17, v15, vcc
	v_cndmask_b32_e32 v14, v16, v14, vcc
	v_subrev_u32_e32 v16, s33, v30
	v_mov_b32_e32 v17, v1
	global_load_ubyte v29, v[14:15], off
	v_lshl_add_u64 v[14:15], v[26:27], 0, s[4:5]
	v_lshl_add_u64 v[16:17], s[6:7], 0, v[16:17]
	v_cmp_gt_u32_e32 vcc, s33, v30
	v_or_b32_e32 v31, 0x180, v0
	s_mov_b64 s[4:5], 0x180
	v_cndmask_b32_e32 v15, v17, v15, vcc
	v_cndmask_b32_e32 v14, v16, v14, vcc
	;; [unrolled: 10-line block ×5, first 2 shown]
	v_subrev_u32_e32 v16, s33, v34
	v_mov_b32_e32 v17, v1
	global_load_ubyte v33, v[14:15], off
	v_lshl_add_u64 v[14:15], v[26:27], 0, s[4:5]
	v_lshl_add_u64 v[16:17], s[6:7], 0, v[16:17]
	v_cmp_gt_u32_e32 vcc, s33, v34
	s_mov_b64 s[4:5], 0x380
	s_nop 0
	v_cndmask_b32_e32 v15, v17, v15, vcc
	v_cndmask_b32_e32 v14, v16, v14, vcc
	global_load_ubyte v17, v[14:15], off
	v_or_b32_e32 v16, 0x380, v0
	v_lshl_add_u64 v[14:15], v[26:27], 0, s[4:5]
	v_subrev_u32_e32 v26, s33, v16
	v_mov_b32_e32 v27, v1
	v_lshl_add_u64 v[26:27], s[6:7], 0, v[26:27]
	v_cmp_gt_u32_e32 vcc, s33, v16
	s_mov_b64 s[4:5], -1
	s_waitcnt vmcnt(6)
	ds_write_b8 v0, v28
	s_waitcnt vmcnt(5)
	ds_write_b8 v0, v29 offset:128
	s_waitcnt vmcnt(4)
	ds_write_b8 v0, v30 offset:256
	;; [unrolled: 2-line block ×6, first 2 shown]
	v_cndmask_b32_e32 v15, v27, v15, vcc
	v_cndmask_b32_e32 v14, v26, v14, vcc
	s_cbranch_execz .LBB8_32
	s_branch .LBB8_67
.LBB8_31:
	s_mov_b64 s[4:5], 0
                                        ; implicit-def: $vgpr16
                                        ; implicit-def: $vgpr14_vgpr15
.LBB8_32:
	s_mov_b64 s[8:9], 0
                                        ; implicit-def: $vgpr14_vgpr15
	s_and_saveexec_b64 s[10:11], s[2:3]
	s_xor_b64 s[2:3], exec, s[10:11]
	s_cbranch_execnz .LBB8_108
; %bb.33:
	s_andn2_saveexec_b64 s[2:3], s[2:3]
	s_cbranch_execnz .LBB8_111
.LBB8_34:
	s_or_b64 exec, exec, s[2:3]
	s_and_saveexec_b64 s[2:3], s[8:9]
	s_cbranch_execz .LBB8_36
.LBB8_35:
	global_load_ubyte v1, v[14:15], off
	s_waitcnt vmcnt(0)
	ds_write_b8 v0, v1
.LBB8_36:
	s_or_b64 exec, exec, s[2:3]
	v_or_b32_e32 v14, 0x80, v0
	v_cmp_le_u32_e32 vcc, s33, v14
	s_mov_b64 s[2:3], -1
	v_mov_b64_e32 v[16:17], s[26:27]
	s_and_saveexec_b64 s[8:9], vcc
; %bb.37:
	v_subrev_u32_e32 v14, s33, v14
	v_cmp_gt_u32_e32 vcc, s34, v14
	v_mov_b64_e32 v[16:17], s[28:29]
	s_orn2_b64 s[2:3], vcc, exec
; %bb.38:
	s_or_b64 exec, exec, s[8:9]
	s_and_saveexec_b64 s[8:9], s[2:3]
	s_cbranch_execz .LBB8_40
; %bb.39:
	v_lshl_add_u64 v[16:17], s[16:17], 0, v[16:17]
	v_mov_b32_e32 v15, 0
	v_lshl_add_u64 v[14:15], v[16:17], 0, v[14:15]
	global_load_ubyte v1, v[14:15], off
	s_waitcnt vmcnt(0)
	ds_write_b8 v0, v1 offset:128
.LBB8_40:
	s_or_b64 exec, exec, s[8:9]
	v_or_b32_e32 v14, 0x100, v0
	v_cmp_le_u32_e32 vcc, s33, v14
	s_mov_b64 s[2:3], -1
	v_mov_b64_e32 v[16:17], s[26:27]
	s_and_saveexec_b64 s[8:9], vcc
; %bb.41:
	v_subrev_u32_e32 v14, s33, v14
	v_cmp_gt_u32_e32 vcc, s34, v14
	v_mov_b64_e32 v[16:17], s[28:29]
	s_orn2_b64 s[2:3], vcc, exec
; %bb.42:
	s_or_b64 exec, exec, s[8:9]
	s_and_saveexec_b64 s[8:9], s[2:3]
	s_cbranch_execz .LBB8_44
; %bb.43:
	v_lshl_add_u64 v[16:17], s[16:17], 0, v[16:17]
	v_mov_b32_e32 v15, 0
	v_lshl_add_u64 v[14:15], v[16:17], 0, v[14:15]
	global_load_ubyte v1, v[14:15], off
	s_waitcnt vmcnt(0)
	ds_write_b8 v0, v1 offset:256
.LBB8_44:
	;; [unrolled: 23-line block ×6, first 2 shown]
	s_or_b64 exec, exec, s[8:9]
	v_or_b32_e32 v1, 0x380, v0
	v_cmp_le_u32_e32 vcc, s33, v1
                                        ; implicit-def: $vgpr16
                                        ; implicit-def: $vgpr14_vgpr15
	s_and_saveexec_b64 s[2:3], vcc
	s_xor_b64 s[2:3], exec, s[2:3]
	s_cbranch_execz .LBB8_64
; %bb.61:
	v_subrev_u32_e32 v12, s33, v1
	v_cmp_gt_u32_e32 vcc, s34, v12
	s_mov_b64 s[8:9], s[4:5]
                                        ; implicit-def: $vgpr16
                                        ; implicit-def: $vgpr14_vgpr15
	s_and_saveexec_b64 s[10:11], vcc
; %bb.62:
	v_mov_b32_e32 v13, 0
	v_or_b32_e32 v16, 0x380, v0
	v_lshl_add_u64 v[14:15], s[6:7], 0, v[12:13]
	s_or_b64 s[8:9], s[4:5], exec
; %bb.63:
	s_or_b64 exec, exec, s[10:11]
	s_andn2_b64 s[4:5], s[4:5], exec
	s_and_b64 s[6:7], s[8:9], exec
	s_or_b64 s[4:5], s[4:5], s[6:7]
                                        ; implicit-def: $vgpr12_vgpr13
.LBB8_64:
	s_andn2_saveexec_b64 s[2:3], s[2:3]
; %bb.65:
	s_mov_b64 s[6:7], 0x380
	v_lshl_add_u64 v[14:15], v[12:13], 0, s[6:7]
	v_or_b32_e32 v16, 0x380, v0
	s_or_b64 s[4:5], s[4:5], exec
; %bb.66:
	s_or_b64 exec, exec, s[2:3]
.LBB8_67:
	s_and_saveexec_b64 s[2:3], s[4:5]
	s_cbranch_execz .LBB8_69
; %bb.68:
	global_load_ubyte v1, v[14:15], off
	s_waitcnt vmcnt(0)
	ds_write_b8 v16, v1
.LBB8_69:
	s_or_b64 exec, exec, s[2:3]
	s_and_b64 vcc, exec, s[0:1]
	v_add_u32_e32 v12, s22, v11
	s_waitcnt lgkmcnt(0)
	s_barrier
	s_cbranch_vccnz .LBB8_71
; %bb.70:
	ds_read_u8 v1, v18
	ds_read_u8 v14, v19
	;; [unrolled: 1-line block ×7, first 2 shown]
	s_waitcnt lgkmcnt(5)
	v_lshlrev_b16_e32 v14, 8, v14
	v_or_b32_e32 v1, v1, v14
	s_waitcnt lgkmcnt(3)
	v_lshlrev_b16_e32 v14, 8, v16
	v_or_b32_sdwa v14, v15, v14 dst_sel:WORD_1 dst_unused:UNUSED_PAD src0_sel:DWORD src1_sel:DWORD
	v_mov_b32_e32 v13, 0
	v_or_b32_sdwa v1, v1, v14 dst_sel:DWORD dst_unused:UNUSED_PAD src0_sel:WORD_0 src1_sel:DWORD
	s_waitcnt lgkmcnt(1)
	v_lshlrev_b16_e32 v14, 8, v26
	s_mov_b64 s[0:1], -1
	v_or_b32_e32 v14, v17, v14
	s_waitcnt lgkmcnt(0)
	global_store_byte v12, v27, s[18:19] offset:6
	global_store_short v12, v14, s[18:19] offset:4
	global_store_dword v12, v1, s[18:19]
	s_cbranch_execz .LBB8_72
	s_branch .LBB8_89
.LBB8_71:
	s_mov_b64 s[0:1], 0
.LBB8_72:
	v_cmp_gt_u32_e32 vcc, s21, v11
	s_and_saveexec_b64 s[2:3], vcc
	s_cbranch_execz .LBB8_74
; %bb.73:
	ds_read_u8 v1, v18
	s_waitcnt lgkmcnt(0)
	global_store_byte v12, v1, s[18:19]
.LBB8_74:
	s_or_b64 exec, exec, s[2:3]
	v_or_b32_e32 v1, 1, v11
	v_cmp_gt_u32_e32 vcc, s21, v1
	s_and_saveexec_b64 s[2:3], vcc
	s_cbranch_execz .LBB8_76
; %bb.75:
	ds_read_u8 v1, v19
	s_waitcnt lgkmcnt(0)
	global_store_byte v12, v1, s[18:19] offset:1
.LBB8_76:
	s_or_b64 exec, exec, s[2:3]
	v_or_b32_e32 v1, 2, v11
	v_cmp_gt_u32_e32 vcc, s21, v1
	s_and_saveexec_b64 s[2:3], vcc
	s_cbranch_execz .LBB8_78
; %bb.77:
	ds_read_u8 v1, v20
	s_waitcnt lgkmcnt(0)
	global_store_byte v12, v1, s[18:19] offset:2
.LBB8_78:
	;; [unrolled: 10-line block ×6, first 2 shown]
	s_or_b64 exec, exec, s[2:3]
	v_or_b32_e32 v1, 7, v11
	v_cmp_gt_u32_e32 vcc, s21, v1
	s_and_saveexec_b64 s[2:3], vcc
; %bb.87:
	v_mov_b32_e32 v13, 0
	s_or_b64 s[0:1], s[0:1], exec
; %bb.88:
	s_or_b64 exec, exec, s[2:3]
.LBB8_89:
	s_and_saveexec_b64 s[2:3], s[0:1]
	s_cbranch_execz .LBB8_91
; %bb.90:
	ds_read_u8 v1, v22
	v_lshl_add_u64 v[12:13], s[18:19], 0, v[12:13]
	s_waitcnt lgkmcnt(0)
	global_store_byte v[12:13], v1, off offset:7
.LBB8_91:
	s_or_b64 exec, exec, s[2:3]
	v_and_b32_e32 v1, 0x7c, v0
	v_lshl_add_u32 v1, v11, 2, v1
	s_barrier
	s_barrier
	ds_write2_b32 v1, v2, v3 offset1:1
	ds_write2_b32 v1, v4, v5 offset0:2 offset1:3
	ds_write2_b32 v1, v6, v7 offset0:4 offset1:5
	;; [unrolled: 1-line block ×3, first 2 shown]
	v_lshrrev_b32_e32 v1, 3, v0
	v_and_b32_e32 v1, 12, v1
	v_or_b32_e32 v11, 0x80, v0
	v_add_u32_e32 v12, v10, v1
	v_lshrrev_b32_e32 v1, 3, v11
	v_and_b32_e32 v1, 28, v1
	v_or_b32_e32 v9, 0x100, v0
	v_add_u32_e32 v13, v10, v1
	;; [unrolled: 4-line block ×6, first 2 shown]
	v_lshrrev_b32_e32 v1, 3, v4
	v_and_b32_e32 v1, 0x6c, v1
	s_mov_b32 s23, 0
	v_add_u32_e32 v18, v10, v1
	v_or_b32_e32 v1, 0x380, v0
	s_lshl_b64 s[0:1], s[22:23], 2
	v_lshrrev_b32_e32 v2, 3, v1
	s_add_u32 s0, s14, s0
	v_and_b32_e32 v2, 0x7c, v2
	s_addc_u32 s1, s15, s1
	v_add_u32_e32 v19, v10, v2
	v_lshlrev_b32_e32 v2, 2, v0
	v_mov_b32_e32 v3, 0
	v_lshl_add_u64 v[2:3], s[0:1], 0, v[2:3]
	s_and_b64 vcc, exec, s[24:25]
	s_waitcnt lgkmcnt(0)
	s_cbranch_vccz .LBB8_93
; %bb.92:
	s_barrier
	ds_read_b32 v10, v12
	ds_read_b32 v20, v13 offset:512
	ds_read_b32 v21, v14 offset:1024
	;; [unrolled: 1-line block ×7, first 2 shown]
	s_waitcnt lgkmcnt(7)
	global_store_dword v[2:3], v10, off
	s_waitcnt lgkmcnt(6)
	global_store_dword v[2:3], v20, off offset:512
	s_waitcnt lgkmcnt(5)
	global_store_dword v[2:3], v21, off offset:1024
	;; [unrolled: 2-line block ×6, first 2 shown]
	s_mov_b64 s[0:1], -1
	s_cbranch_execz .LBB8_94
	s_branch .LBB8_103
.LBB8_93:
	s_mov_b64 s[0:1], 0
                                        ; implicit-def: $vgpr7
.LBB8_94:
	s_barrier
	s_waitcnt lgkmcnt(0)
	ds_read_b32 v21, v13 offset:512
	ds_read_b32 v20, v14 offset:1024
	;; [unrolled: 1-line block ×7, first 2 shown]
	s_sub_i32 s2, s20, s22
	v_cmp_gt_u32_e32 vcc, s2, v0
	s_and_saveexec_b64 s[0:1], vcc
	s_cbranch_execnz .LBB8_112
; %bb.95:
	s_or_b64 exec, exec, s[0:1]
	v_cmp_gt_u32_e32 vcc, s2, v11
	s_and_saveexec_b64 s[0:1], vcc
	s_cbranch_execnz .LBB8_113
.LBB8_96:
	s_or_b64 exec, exec, s[0:1]
	v_cmp_gt_u32_e32 vcc, s2, v9
	s_and_saveexec_b64 s[0:1], vcc
	s_cbranch_execnz .LBB8_114
.LBB8_97:
	s_or_b64 exec, exec, s[0:1]
	v_cmp_gt_u32_e32 vcc, s2, v8
	s_and_saveexec_b64 s[0:1], vcc
	s_cbranch_execnz .LBB8_115
.LBB8_98:
	s_or_b64 exec, exec, s[0:1]
	v_cmp_gt_u32_e32 vcc, s2, v6
	s_and_saveexec_b64 s[0:1], vcc
	s_cbranch_execnz .LBB8_116
.LBB8_99:
	s_or_b64 exec, exec, s[0:1]
	v_cmp_gt_u32_e32 vcc, s2, v5
	s_and_saveexec_b64 s[0:1], vcc
	s_cbranch_execnz .LBB8_117
.LBB8_100:
	s_or_b64 exec, exec, s[0:1]
	v_cmp_gt_u32_e32 vcc, s2, v4
	s_and_saveexec_b64 s[0:1], vcc
	s_cbranch_execz .LBB8_102
.LBB8_101:
	s_waitcnt lgkmcnt(1)
	global_store_dword v[2:3], v10, off offset:3072
.LBB8_102:
	s_or_b64 exec, exec, s[0:1]
	v_cmp_gt_u32_e64 s[0:1], s2, v1
.LBB8_103:
	s_and_saveexec_b64 s[2:3], s[0:1]
	s_cbranch_execz .LBB8_105
; %bb.104:
	s_waitcnt lgkmcnt(0)
	global_store_dword v[2:3], v7, off offset:3584
.LBB8_105:
	s_endpgm
.LBB8_106:
	v_mov_b32_e32 v11, 0
	s_waitcnt vmcnt(5)
	v_subrev_u32_e32 v4, s33, v0
	s_waitcnt vmcnt(4)
	v_mov_b32_e32 v5, v11
	v_lshl_add_u64 v[2:3], s[0:1], 0, v[10:11]
	v_lshl_add_u64 v[4:5], v[4:5], 2, s[4:5]
	v_cmp_gt_u32_e32 vcc, s33, v0
	s_nop 1
	v_cndmask_b32_e32 v3, v5, v3, vcc
	v_cndmask_b32_e32 v2, v4, v2, vcc
	global_load_dword v2, v[2:3], off
	s_or_b64 exec, exec, s[2:3]
	v_cmp_gt_u32_e32 vcc, s21, v14
	s_and_saveexec_b64 s[2:3], vcc
	s_cbranch_execz .LBB8_6
.LBB8_107:
	v_mov_b32_e32 v15, 0
	v_lshl_add_u64 v[16:17], v[14:15], 2, s[0:1]
	v_cmp_gt_u32_e32 vcc, s33, v14
	v_subrev_u32_e32 v14, s33, v14
	v_lshl_add_u64 v[14:15], v[14:15], 2, s[4:5]
	v_cndmask_b32_e32 v15, v15, v17, vcc
	v_cndmask_b32_e32 v14, v14, v16, vcc
	global_load_dword v3, v[14:15], off
	s_or_b64 exec, exec, s[2:3]
	v_cmp_gt_u32_e32 vcc, s21, v12
	s_and_saveexec_b64 s[2:3], vcc
	s_cbranch_execnz .LBB8_7
	s_branch .LBB8_8
.LBB8_108:
	v_subrev_u32_e32 v16, s33, v0
	v_cmp_gt_u32_e32 vcc, s34, v16
                                        ; implicit-def: $vgpr14_vgpr15
	s_and_saveexec_b64 s[10:11], vcc
	s_xor_b64 s[10:11], exec, s[10:11]
; %bb.109:
	v_mov_b32_e32 v17, 0
	s_mov_b64 s[8:9], exec
	v_lshl_add_u64 v[14:15], s[6:7], 0, v[16:17]
; %bb.110:
	s_or_b64 exec, exec, s[10:11]
	s_and_b64 s[8:9], s[8:9], exec
	s_andn2_saveexec_b64 s[2:3], s[2:3]
	s_cbranch_execz .LBB8_34
.LBB8_111:
	s_or_b64 s[8:9], s[8:9], exec
	v_mov_b64_e32 v[14:15], v[12:13]
	s_or_b64 exec, exec, s[2:3]
	s_and_saveexec_b64 s[2:3], s[8:9]
	s_cbranch_execnz .LBB8_35
	s_branch .LBB8_36
.LBB8_112:
	ds_read_b32 v0, v12
	s_waitcnt lgkmcnt(0)
	global_store_dword v[2:3], v0, off
	s_or_b64 exec, exec, s[0:1]
	v_cmp_gt_u32_e32 vcc, s2, v11
	s_and_saveexec_b64 s[0:1], vcc
	s_cbranch_execz .LBB8_96
.LBB8_113:
	s_waitcnt lgkmcnt(6)
	global_store_dword v[2:3], v21, off offset:512
	s_or_b64 exec, exec, s[0:1]
	v_cmp_gt_u32_e32 vcc, s2, v9
	s_and_saveexec_b64 s[0:1], vcc
	s_cbranch_execz .LBB8_97
.LBB8_114:
	s_waitcnt lgkmcnt(5)
	global_store_dword v[2:3], v20, off offset:1024
	s_or_b64 exec, exec, s[0:1]
	v_cmp_gt_u32_e32 vcc, s2, v8
	s_and_saveexec_b64 s[0:1], vcc
	s_cbranch_execz .LBB8_98
.LBB8_115:
	s_waitcnt lgkmcnt(4)
	global_store_dword v[2:3], v15, off offset:1536
	s_or_b64 exec, exec, s[0:1]
	v_cmp_gt_u32_e32 vcc, s2, v6
	s_and_saveexec_b64 s[0:1], vcc
	s_cbranch_execz .LBB8_99
.LBB8_116:
	s_waitcnt lgkmcnt(3)
	global_store_dword v[2:3], v14, off offset:2048
	s_or_b64 exec, exec, s[0:1]
	v_cmp_gt_u32_e32 vcc, s2, v5
	s_and_saveexec_b64 s[0:1], vcc
	s_cbranch_execz .LBB8_100
.LBB8_117:
	s_waitcnt lgkmcnt(2)
	global_store_dword v[2:3], v13, off offset:2560
	s_or_b64 exec, exec, s[0:1]
	v_cmp_gt_u32_e32 vcc, s2, v4
	s_and_saveexec_b64 s[0:1], vcc
	s_cbranch_execnz .LBB8_101
	s_branch .LBB8_102
	.section	.rodata,"a",@progbits
	.p2align	6, 0x0
	.amdhsa_kernel _ZN7rocprim17ROCPRIM_304000_NS6detail35device_block_merge_mergepath_kernelINS1_37wrapped_merge_sort_block_merge_configINS0_14default_configEiN2at4cuda3cub6detail10OpaqueTypeILi1EEEEEPiSC_PSA_SD_jNS1_19radix_merge_compareILb1ELb1EiNS0_19identity_decomposerEEEEEvT0_T1_T2_T3_T4_SL_jT5_PKSL_NS1_7vsmem_tE
		.amdhsa_group_segment_fixed_size 4224
		.amdhsa_private_segment_fixed_size 0
		.amdhsa_kernarg_size 320
		.amdhsa_user_sgpr_count 2
		.amdhsa_user_sgpr_dispatch_ptr 0
		.amdhsa_user_sgpr_queue_ptr 0
		.amdhsa_user_sgpr_kernarg_segment_ptr 1
		.amdhsa_user_sgpr_dispatch_id 0
		.amdhsa_user_sgpr_kernarg_preload_length 0
		.amdhsa_user_sgpr_kernarg_preload_offset 0
		.amdhsa_user_sgpr_private_segment_size 0
		.amdhsa_uses_dynamic_stack 0
		.amdhsa_enable_private_segment 0
		.amdhsa_system_sgpr_workgroup_id_x 1
		.amdhsa_system_sgpr_workgroup_id_y 1
		.amdhsa_system_sgpr_workgroup_id_z 1
		.amdhsa_system_sgpr_workgroup_info 0
		.amdhsa_system_vgpr_workitem_id 0
		.amdhsa_next_free_vgpr 35
		.amdhsa_next_free_sgpr 35
		.amdhsa_accum_offset 36
		.amdhsa_reserve_vcc 1
		.amdhsa_float_round_mode_32 0
		.amdhsa_float_round_mode_16_64 0
		.amdhsa_float_denorm_mode_32 3
		.amdhsa_float_denorm_mode_16_64 3
		.amdhsa_dx10_clamp 1
		.amdhsa_ieee_mode 1
		.amdhsa_fp16_overflow 0
		.amdhsa_tg_split 0
		.amdhsa_exception_fp_ieee_invalid_op 0
		.amdhsa_exception_fp_denorm_src 0
		.amdhsa_exception_fp_ieee_div_zero 0
		.amdhsa_exception_fp_ieee_overflow 0
		.amdhsa_exception_fp_ieee_underflow 0
		.amdhsa_exception_fp_ieee_inexact 0
		.amdhsa_exception_int_div_zero 0
	.end_amdhsa_kernel
	.section	.text._ZN7rocprim17ROCPRIM_304000_NS6detail35device_block_merge_mergepath_kernelINS1_37wrapped_merge_sort_block_merge_configINS0_14default_configEiN2at4cuda3cub6detail10OpaqueTypeILi1EEEEEPiSC_PSA_SD_jNS1_19radix_merge_compareILb1ELb1EiNS0_19identity_decomposerEEEEEvT0_T1_T2_T3_T4_SL_jT5_PKSL_NS1_7vsmem_tE,"axG",@progbits,_ZN7rocprim17ROCPRIM_304000_NS6detail35device_block_merge_mergepath_kernelINS1_37wrapped_merge_sort_block_merge_configINS0_14default_configEiN2at4cuda3cub6detail10OpaqueTypeILi1EEEEEPiSC_PSA_SD_jNS1_19radix_merge_compareILb1ELb1EiNS0_19identity_decomposerEEEEEvT0_T1_T2_T3_T4_SL_jT5_PKSL_NS1_7vsmem_tE,comdat
.Lfunc_end8:
	.size	_ZN7rocprim17ROCPRIM_304000_NS6detail35device_block_merge_mergepath_kernelINS1_37wrapped_merge_sort_block_merge_configINS0_14default_configEiN2at4cuda3cub6detail10OpaqueTypeILi1EEEEEPiSC_PSA_SD_jNS1_19radix_merge_compareILb1ELb1EiNS0_19identity_decomposerEEEEEvT0_T1_T2_T3_T4_SL_jT5_PKSL_NS1_7vsmem_tE, .Lfunc_end8-_ZN7rocprim17ROCPRIM_304000_NS6detail35device_block_merge_mergepath_kernelINS1_37wrapped_merge_sort_block_merge_configINS0_14default_configEiN2at4cuda3cub6detail10OpaqueTypeILi1EEEEEPiSC_PSA_SD_jNS1_19radix_merge_compareILb1ELb1EiNS0_19identity_decomposerEEEEEvT0_T1_T2_T3_T4_SL_jT5_PKSL_NS1_7vsmem_tE
                                        ; -- End function
	.section	.AMDGPU.csdata,"",@progbits
; Kernel info:
; codeLenInByte = 5328
; NumSgprs: 41
; NumVgprs: 35
; NumAgprs: 0
; TotalNumVgprs: 35
; ScratchSize: 0
; MemoryBound: 0
; FloatMode: 240
; IeeeMode: 1
; LDSByteSize: 4224 bytes/workgroup (compile time only)
; SGPRBlocks: 5
; VGPRBlocks: 4
; NumSGPRsForWavesPerEU: 41
; NumVGPRsForWavesPerEU: 35
; AccumOffset: 36
; Occupancy: 8
; WaveLimiterHint : 1
; COMPUTE_PGM_RSRC2:SCRATCH_EN: 0
; COMPUTE_PGM_RSRC2:USER_SGPR: 2
; COMPUTE_PGM_RSRC2:TRAP_HANDLER: 0
; COMPUTE_PGM_RSRC2:TGID_X_EN: 1
; COMPUTE_PGM_RSRC2:TGID_Y_EN: 1
; COMPUTE_PGM_RSRC2:TGID_Z_EN: 1
; COMPUTE_PGM_RSRC2:TIDIG_COMP_CNT: 0
; COMPUTE_PGM_RSRC3_GFX90A:ACCUM_OFFSET: 8
; COMPUTE_PGM_RSRC3_GFX90A:TG_SPLIT: 0
	.section	.text._ZN7rocprim17ROCPRIM_304000_NS6detail33device_block_merge_oddeven_kernelINS1_37wrapped_merge_sort_block_merge_configINS0_14default_configEiN2at4cuda3cub6detail10OpaqueTypeILi1EEEEEPiSC_PSA_SD_jNS1_19radix_merge_compareILb1ELb1EiNS0_19identity_decomposerEEEEEvT0_T1_T2_T3_T4_SL_T5_,"axG",@progbits,_ZN7rocprim17ROCPRIM_304000_NS6detail33device_block_merge_oddeven_kernelINS1_37wrapped_merge_sort_block_merge_configINS0_14default_configEiN2at4cuda3cub6detail10OpaqueTypeILi1EEEEEPiSC_PSA_SD_jNS1_19radix_merge_compareILb1ELb1EiNS0_19identity_decomposerEEEEEvT0_T1_T2_T3_T4_SL_T5_,comdat
	.protected	_ZN7rocprim17ROCPRIM_304000_NS6detail33device_block_merge_oddeven_kernelINS1_37wrapped_merge_sort_block_merge_configINS0_14default_configEiN2at4cuda3cub6detail10OpaqueTypeILi1EEEEEPiSC_PSA_SD_jNS1_19radix_merge_compareILb1ELb1EiNS0_19identity_decomposerEEEEEvT0_T1_T2_T3_T4_SL_T5_ ; -- Begin function _ZN7rocprim17ROCPRIM_304000_NS6detail33device_block_merge_oddeven_kernelINS1_37wrapped_merge_sort_block_merge_configINS0_14default_configEiN2at4cuda3cub6detail10OpaqueTypeILi1EEEEEPiSC_PSA_SD_jNS1_19radix_merge_compareILb1ELb1EiNS0_19identity_decomposerEEEEEvT0_T1_T2_T3_T4_SL_T5_
	.globl	_ZN7rocprim17ROCPRIM_304000_NS6detail33device_block_merge_oddeven_kernelINS1_37wrapped_merge_sort_block_merge_configINS0_14default_configEiN2at4cuda3cub6detail10OpaqueTypeILi1EEEEEPiSC_PSA_SD_jNS1_19radix_merge_compareILb1ELb1EiNS0_19identity_decomposerEEEEEvT0_T1_T2_T3_T4_SL_T5_
	.p2align	8
	.type	_ZN7rocprim17ROCPRIM_304000_NS6detail33device_block_merge_oddeven_kernelINS1_37wrapped_merge_sort_block_merge_configINS0_14default_configEiN2at4cuda3cub6detail10OpaqueTypeILi1EEEEEPiSC_PSA_SD_jNS1_19radix_merge_compareILb1ELb1EiNS0_19identity_decomposerEEEEEvT0_T1_T2_T3_T4_SL_T5_,@function
_ZN7rocprim17ROCPRIM_304000_NS6detail33device_block_merge_oddeven_kernelINS1_37wrapped_merge_sort_block_merge_configINS0_14default_configEiN2at4cuda3cub6detail10OpaqueTypeILi1EEEEEPiSC_PSA_SD_jNS1_19radix_merge_compareILb1ELb1EiNS0_19identity_decomposerEEEEEvT0_T1_T2_T3_T4_SL_T5_: ; @_ZN7rocprim17ROCPRIM_304000_NS6detail33device_block_merge_oddeven_kernelINS1_37wrapped_merge_sort_block_merge_configINS0_14default_configEiN2at4cuda3cub6detail10OpaqueTypeILi1EEEEEPiSC_PSA_SD_jNS1_19radix_merge_compareILb1ELb1EiNS0_19identity_decomposerEEEEEvT0_T1_T2_T3_T4_SL_T5_
; %bb.0:
	s_load_dwordx4 s[16:19], s[0:1], 0x20
	s_waitcnt lgkmcnt(0)
	s_lshr_b32 s3, s16, 8
	s_cmp_lg_u32 s2, s3
	s_cselect_b64 s[8:9], -1, 0
	s_cmp_eq_u32 s2, s3
	s_cselect_b64 s[6:7], -1, 0
	s_lshl_b32 s20, s2, 8
	s_sub_i32 s3, s16, s20
	v_cmp_gt_u32_e64 s[4:5], s3, v0
	s_or_b64 s[8:9], s[8:9], s[4:5]
	s_and_saveexec_b64 s[10:11], s[8:9]
	s_cbranch_execz .LBB9_26
; %bb.1:
	s_load_dwordx8 s[8:15], s[0:1], 0x0
	s_mov_b32 s21, 0
	s_lshl_b64 s[0:1], s[20:21], 2
	v_lshlrev_b32_e32 v1, 2, v0
	v_add_u32_e32 v2, s20, v0
	s_waitcnt lgkmcnt(0)
	s_add_u32 s0, s8, s0
	s_addc_u32 s1, s9, s1
	s_add_u32 s12, s12, s20
	s_addc_u32 s13, s13, 0
	global_load_ubyte v4, v0, s[12:13]
	global_load_dword v5, v1, s[0:1]
	s_lshr_b32 s0, s17, 8
	s_sub_i32 s1, 0, s0
	s_and_b32 s1, s2, s1
	s_and_b32 s0, s1, s0
	s_lshl_b32 s22, s1, 8
	s_sub_i32 s12, 0, s17
	s_cmp_eq_u32 s0, 0
	s_cselect_b64 s[0:1], -1, 0
	s_and_b64 s[2:3], s[0:1], exec
	s_cselect_b32 s19, s17, s12
	s_add_i32 s19, s19, s22
	s_cmp_lt_u32 s19, s16
	s_cbranch_scc1 .LBB9_6
; %bb.2:
	s_and_b64 vcc, exec, s[6:7]
	s_cbranch_vccz .LBB9_7
; %bb.3:
	v_cmp_gt_u32_e32 vcc, s16, v2
	s_mov_b64 s[12:13], 0
	s_mov_b64 s[2:3], 0
                                        ; implicit-def: $vgpr0_vgpr1
	s_and_saveexec_b64 s[20:21], vcc
	s_cbranch_execz .LBB9_5
; %bb.4:
	v_mov_b32_e32 v3, 0
	s_mov_b64 s[2:3], exec
	v_lshl_add_u64 v[0:1], s[14:15], 0, v[2:3]
	v_lshl_add_u64 v[6:7], v[2:3], 2, s[10:11]
	s_waitcnt vmcnt(0)
	global_store_dword v[6:7], v5, off
.LBB9_5:
	s_or_b64 exec, exec, s[20:21]
	s_and_b64 vcc, exec, s[12:13]
	s_cbranch_vccnz .LBB9_8
	s_branch .LBB9_9
.LBB9_6:
	s_mov_b64 s[2:3], 0
                                        ; implicit-def: $vgpr0_vgpr1
	s_cbranch_execnz .LBB9_10
	s_branch .LBB9_24
.LBB9_7:
	s_mov_b64 s[2:3], 0
                                        ; implicit-def: $vgpr0_vgpr1
	s_cbranch_execz .LBB9_9
.LBB9_8:
	v_mov_b32_e32 v3, 0
	v_lshl_add_u64 v[0:1], v[2:3], 2, s[10:11]
	s_waitcnt vmcnt(0)
	global_store_dword v[0:1], v5, off
	v_lshl_add_u64 v[0:1], s[14:15], 0, v[2:3]
	s_or_b64 s[2:3], s[2:3], exec
.LBB9_9:
	s_branch .LBB9_24
.LBB9_10:
	s_min_u32 s12, s19, s16
	s_add_i32 s13, s12, s17
	s_min_u32 s13, s13, s16
	s_min_u32 s16, s22, s12
	s_add_i32 s22, s22, s12
	v_subrev_u32_e32 v0, s22, v2
	v_add_u32_e32 v2, s16, v0
	s_and_b64 vcc, exec, s[6:7]
	s_cbranch_vccz .LBB9_18
; %bb.11:
                                        ; implicit-def: $vgpr0_vgpr1
	s_and_saveexec_b64 s[6:7], s[4:5]
	s_cbranch_execz .LBB9_17
; %bb.12:
	s_cmp_ge_u32 s19, s13
	v_mov_b32_e32 v3, s12
	s_cbranch_scc1 .LBB9_16
; %bb.13:
	s_waitcnt vmcnt(0)
	v_and_b32_e32 v6, s18, v5
	s_mov_b64 s[4:5], 0
	v_mov_b32_e32 v7, s13
	v_mov_b32_e32 v3, s12
	v_mov_b32_e32 v1, 0
.LBB9_14:                               ; =>This Inner Loop Header: Depth=1
	v_add_u32_e32 v0, v3, v7
	v_lshrrev_b32_e32 v0, 1, v0
	v_lshl_add_u64 v[8:9], v[0:1], 2, s[8:9]
	global_load_dword v8, v[8:9], off
	v_add_u32_e32 v9, 1, v0
	s_waitcnt vmcnt(0)
	v_and_b32_e32 v8, s18, v8
	v_cmp_gt_i32_e32 vcc, v8, v6
	s_nop 1
	v_cndmask_b32_e64 v10, 0, 1, vcc
	v_cmp_le_i32_e32 vcc, v6, v8
	s_nop 1
	v_cndmask_b32_e64 v8, 0, 1, vcc
	v_cndmask_b32_e64 v8, v8, v10, s[0:1]
	v_and_b32_e32 v8, 1, v8
	v_cmp_eq_u32_e32 vcc, 1, v8
	s_nop 1
	v_cndmask_b32_e32 v7, v0, v7, vcc
	v_cndmask_b32_e32 v3, v3, v9, vcc
	v_cmp_ge_u32_e32 vcc, v3, v7
	s_or_b64 s[4:5], vcc, s[4:5]
	s_andn2_b64 exec, exec, s[4:5]
	s_cbranch_execnz .LBB9_14
; %bb.15:
	s_or_b64 exec, exec, s[4:5]
.LBB9_16:
	v_add_u32_e32 v0, v3, v2
	v_mov_b32_e32 v1, 0
	v_lshl_add_u64 v[6:7], v[0:1], 2, s[10:11]
	s_waitcnt vmcnt(0)
	global_store_dword v[6:7], v5, off
	v_lshl_add_u64 v[0:1], s[14:15], 0, v[0:1]
	s_or_b64 s[2:3], s[2:3], exec
.LBB9_17:
	s_or_b64 exec, exec, s[6:7]
	s_branch .LBB9_24
.LBB9_18:
                                        ; implicit-def: $vgpr0_vgpr1
	s_cbranch_execz .LBB9_24
; %bb.19:
	s_cmp_ge_u32 s19, s13
	v_mov_b32_e32 v3, s12
	s_cbranch_scc1 .LBB9_23
; %bb.20:
	s_waitcnt vmcnt(0)
	v_and_b32_e32 v6, s18, v5
	s_mov_b64 s[2:3], 0
	v_mov_b32_e32 v7, s13
	v_mov_b32_e32 v3, s12
	;; [unrolled: 1-line block ×3, first 2 shown]
.LBB9_21:                               ; =>This Inner Loop Header: Depth=1
	v_add_u32_e32 v0, v3, v7
	v_lshrrev_b32_e32 v0, 1, v0
	v_lshl_add_u64 v[8:9], v[0:1], 2, s[8:9]
	global_load_dword v8, v[8:9], off
	v_add_u32_e32 v9, 1, v0
	s_waitcnt vmcnt(0)
	v_and_b32_e32 v8, s18, v8
	v_cmp_gt_i32_e32 vcc, v8, v6
	s_nop 1
	v_cndmask_b32_e64 v10, 0, 1, vcc
	v_cmp_le_i32_e32 vcc, v6, v8
	s_nop 1
	v_cndmask_b32_e64 v8, 0, 1, vcc
	v_cndmask_b32_e64 v8, v8, v10, s[0:1]
	v_and_b32_e32 v8, 1, v8
	v_cmp_eq_u32_e32 vcc, 1, v8
	s_nop 1
	v_cndmask_b32_e32 v7, v0, v7, vcc
	v_cndmask_b32_e32 v3, v3, v9, vcc
	v_cmp_ge_u32_e32 vcc, v3, v7
	s_or_b64 s[2:3], vcc, s[2:3]
	s_andn2_b64 exec, exec, s[2:3]
	s_cbranch_execnz .LBB9_21
; %bb.22:
	s_or_b64 exec, exec, s[2:3]
.LBB9_23:
	v_add_u32_e32 v0, v3, v2
	v_mov_b32_e32 v1, 0
	v_lshl_add_u64 v[2:3], v[0:1], 2, s[10:11]
	v_lshl_add_u64 v[0:1], s[14:15], 0, v[0:1]
	s_mov_b64 s[2:3], -1
	s_waitcnt vmcnt(0)
	global_store_dword v[2:3], v5, off
.LBB9_24:
	s_and_b64 exec, exec, s[2:3]
	s_cbranch_execz .LBB9_26
; %bb.25:
	s_waitcnt vmcnt(1)
	global_store_byte v[0:1], v4, off
.LBB9_26:
	s_endpgm
	.section	.rodata,"a",@progbits
	.p2align	6, 0x0
	.amdhsa_kernel _ZN7rocprim17ROCPRIM_304000_NS6detail33device_block_merge_oddeven_kernelINS1_37wrapped_merge_sort_block_merge_configINS0_14default_configEiN2at4cuda3cub6detail10OpaqueTypeILi1EEEEEPiSC_PSA_SD_jNS1_19radix_merge_compareILb1ELb1EiNS0_19identity_decomposerEEEEEvT0_T1_T2_T3_T4_SL_T5_
		.amdhsa_group_segment_fixed_size 0
		.amdhsa_private_segment_fixed_size 0
		.amdhsa_kernarg_size 44
		.amdhsa_user_sgpr_count 2
		.amdhsa_user_sgpr_dispatch_ptr 0
		.amdhsa_user_sgpr_queue_ptr 0
		.amdhsa_user_sgpr_kernarg_segment_ptr 1
		.amdhsa_user_sgpr_dispatch_id 0
		.amdhsa_user_sgpr_kernarg_preload_length 0
		.amdhsa_user_sgpr_kernarg_preload_offset 0
		.amdhsa_user_sgpr_private_segment_size 0
		.amdhsa_uses_dynamic_stack 0
		.amdhsa_enable_private_segment 0
		.amdhsa_system_sgpr_workgroup_id_x 1
		.amdhsa_system_sgpr_workgroup_id_y 0
		.amdhsa_system_sgpr_workgroup_id_z 0
		.amdhsa_system_sgpr_workgroup_info 0
		.amdhsa_system_vgpr_workitem_id 0
		.amdhsa_next_free_vgpr 11
		.amdhsa_next_free_sgpr 23
		.amdhsa_accum_offset 12
		.amdhsa_reserve_vcc 1
		.amdhsa_float_round_mode_32 0
		.amdhsa_float_round_mode_16_64 0
		.amdhsa_float_denorm_mode_32 3
		.amdhsa_float_denorm_mode_16_64 3
		.amdhsa_dx10_clamp 1
		.amdhsa_ieee_mode 1
		.amdhsa_fp16_overflow 0
		.amdhsa_tg_split 0
		.amdhsa_exception_fp_ieee_invalid_op 0
		.amdhsa_exception_fp_denorm_src 0
		.amdhsa_exception_fp_ieee_div_zero 0
		.amdhsa_exception_fp_ieee_overflow 0
		.amdhsa_exception_fp_ieee_underflow 0
		.amdhsa_exception_fp_ieee_inexact 0
		.amdhsa_exception_int_div_zero 0
	.end_amdhsa_kernel
	.section	.text._ZN7rocprim17ROCPRIM_304000_NS6detail33device_block_merge_oddeven_kernelINS1_37wrapped_merge_sort_block_merge_configINS0_14default_configEiN2at4cuda3cub6detail10OpaqueTypeILi1EEEEEPiSC_PSA_SD_jNS1_19radix_merge_compareILb1ELb1EiNS0_19identity_decomposerEEEEEvT0_T1_T2_T3_T4_SL_T5_,"axG",@progbits,_ZN7rocprim17ROCPRIM_304000_NS6detail33device_block_merge_oddeven_kernelINS1_37wrapped_merge_sort_block_merge_configINS0_14default_configEiN2at4cuda3cub6detail10OpaqueTypeILi1EEEEEPiSC_PSA_SD_jNS1_19radix_merge_compareILb1ELb1EiNS0_19identity_decomposerEEEEEvT0_T1_T2_T3_T4_SL_T5_,comdat
.Lfunc_end9:
	.size	_ZN7rocprim17ROCPRIM_304000_NS6detail33device_block_merge_oddeven_kernelINS1_37wrapped_merge_sort_block_merge_configINS0_14default_configEiN2at4cuda3cub6detail10OpaqueTypeILi1EEEEEPiSC_PSA_SD_jNS1_19radix_merge_compareILb1ELb1EiNS0_19identity_decomposerEEEEEvT0_T1_T2_T3_T4_SL_T5_, .Lfunc_end9-_ZN7rocprim17ROCPRIM_304000_NS6detail33device_block_merge_oddeven_kernelINS1_37wrapped_merge_sort_block_merge_configINS0_14default_configEiN2at4cuda3cub6detail10OpaqueTypeILi1EEEEEPiSC_PSA_SD_jNS1_19radix_merge_compareILb1ELb1EiNS0_19identity_decomposerEEEEEvT0_T1_T2_T3_T4_SL_T5_
                                        ; -- End function
	.section	.AMDGPU.csdata,"",@progbits
; Kernel info:
; codeLenInByte = 776
; NumSgprs: 29
; NumVgprs: 11
; NumAgprs: 0
; TotalNumVgprs: 11
; ScratchSize: 0
; MemoryBound: 0
; FloatMode: 240
; IeeeMode: 1
; LDSByteSize: 0 bytes/workgroup (compile time only)
; SGPRBlocks: 3
; VGPRBlocks: 1
; NumSGPRsForWavesPerEU: 29
; NumVGPRsForWavesPerEU: 11
; AccumOffset: 12
; Occupancy: 8
; WaveLimiterHint : 0
; COMPUTE_PGM_RSRC2:SCRATCH_EN: 0
; COMPUTE_PGM_RSRC2:USER_SGPR: 2
; COMPUTE_PGM_RSRC2:TRAP_HANDLER: 0
; COMPUTE_PGM_RSRC2:TGID_X_EN: 1
; COMPUTE_PGM_RSRC2:TGID_Y_EN: 0
; COMPUTE_PGM_RSRC2:TGID_Z_EN: 0
; COMPUTE_PGM_RSRC2:TIDIG_COMP_CNT: 0
; COMPUTE_PGM_RSRC3_GFX90A:ACCUM_OFFSET: 2
; COMPUTE_PGM_RSRC3_GFX90A:TG_SPLIT: 0
	.section	.text._ZN7rocprim17ROCPRIM_304000_NS6detail26onesweep_histograms_kernelINS1_34wrapped_radix_sort_onesweep_configINS0_14default_configEiN2at4cuda3cub6detail10OpaqueTypeILi1EEEEELb1EPKimNS0_19identity_decomposerEEEvT1_PT2_SG_SG_T3_jj,"axG",@progbits,_ZN7rocprim17ROCPRIM_304000_NS6detail26onesweep_histograms_kernelINS1_34wrapped_radix_sort_onesweep_configINS0_14default_configEiN2at4cuda3cub6detail10OpaqueTypeILi1EEEEELb1EPKimNS0_19identity_decomposerEEEvT1_PT2_SG_SG_T3_jj,comdat
	.protected	_ZN7rocprim17ROCPRIM_304000_NS6detail26onesweep_histograms_kernelINS1_34wrapped_radix_sort_onesweep_configINS0_14default_configEiN2at4cuda3cub6detail10OpaqueTypeILi1EEEEELb1EPKimNS0_19identity_decomposerEEEvT1_PT2_SG_SG_T3_jj ; -- Begin function _ZN7rocprim17ROCPRIM_304000_NS6detail26onesweep_histograms_kernelINS1_34wrapped_radix_sort_onesweep_configINS0_14default_configEiN2at4cuda3cub6detail10OpaqueTypeILi1EEEEELb1EPKimNS0_19identity_decomposerEEEvT1_PT2_SG_SG_T3_jj
	.globl	_ZN7rocprim17ROCPRIM_304000_NS6detail26onesweep_histograms_kernelINS1_34wrapped_radix_sort_onesweep_configINS0_14default_configEiN2at4cuda3cub6detail10OpaqueTypeILi1EEEEELb1EPKimNS0_19identity_decomposerEEEvT1_PT2_SG_SG_T3_jj
	.p2align	8
	.type	_ZN7rocprim17ROCPRIM_304000_NS6detail26onesweep_histograms_kernelINS1_34wrapped_radix_sort_onesweep_configINS0_14default_configEiN2at4cuda3cub6detail10OpaqueTypeILi1EEEEELb1EPKimNS0_19identity_decomposerEEEvT1_PT2_SG_SG_T3_jj,@function
_ZN7rocprim17ROCPRIM_304000_NS6detail26onesweep_histograms_kernelINS1_34wrapped_radix_sort_onesweep_configINS0_14default_configEiN2at4cuda3cub6detail10OpaqueTypeILi1EEEEELb1EPKimNS0_19identity_decomposerEEEvT1_PT2_SG_SG_T3_jj: ; @_ZN7rocprim17ROCPRIM_304000_NS6detail26onesweep_histograms_kernelINS1_34wrapped_radix_sort_onesweep_configINS0_14default_configEiN2at4cuda3cub6detail10OpaqueTypeILi1EEEEELb1EPKimNS0_19identity_decomposerEEEvT1_PT2_SG_SG_T3_jj
; %bb.0:
	s_load_dwordx8 s[64:71], s[0:1], 0x0
	s_load_dwordx2 s[72:73], s[0:1], 0x24
	s_mov_b32 s3, 0
	s_lshl_b64 s[0:1], s[2:3], 17
	s_waitcnt lgkmcnt(0)
	v_mov_b64_e32 v[2:3], s[70:71]
	v_cmp_ge_u64_e32 vcc, s[2:3], v[2:3]
	s_add_u32 s74, s64, s0
	s_addc_u32 s75, s65, s1
	s_mov_b64 s[0:1], -1
	v_lshlrev_b32_e32 v2, 2, v0
	s_cbranch_vccz .LBB10_200
; %bb.1:
	s_lshl_b32 s0, s70, 15
	s_sub_i32 s33, s68, s0
	v_mov_b32_e32 v3, 0
	v_lshl_add_u64 v[4:5], s[74:75], 0, v[2:3]
	v_cmp_gt_u32_e64 s[64:65], s33, v0
                                        ; implicit-def: $vgpr1
	s_and_saveexec_b64 s[0:1], s[64:65]
	s_cbranch_execz .LBB10_3
; %bb.2:
	global_load_dword v1, v[4:5], off
.LBB10_3:
	s_or_b64 exec, exec, s[0:1]
	v_or_b32_e32 v3, 0x400, v0
	v_cmp_gt_u32_e64 s[62:63], s33, v3
                                        ; implicit-def: $vgpr35
	s_and_saveexec_b64 s[0:1], s[62:63]
	s_cbranch_execz .LBB10_5
; %bb.4:
	v_add_co_u32_e32 v6, vcc, 0x1000, v4
	s_nop 1
	v_addc_co_u32_e32 v7, vcc, 0, v5, vcc
	global_load_dword v35, v[6:7], off
.LBB10_5:
	s_or_b64 exec, exec, s[0:1]
	v_or_b32_e32 v3, 0x800, v0
	v_cmp_gt_u32_e64 s[60:61], s33, v3
                                        ; implicit-def: $vgpr34
	s_and_saveexec_b64 s[0:1], s[60:61]
	s_cbranch_execz .LBB10_7
; %bb.6:
	v_add_co_u32_e32 v6, vcc, 0x2000, v4
	s_nop 1
	v_addc_co_u32_e32 v7, vcc, 0, v5, vcc
	global_load_dword v34, v[6:7], off
.LBB10_7:
	s_or_b64 exec, exec, s[0:1]
	v_or_b32_e32 v3, 0xc00, v0
	v_cmp_gt_u32_e64 s[58:59], s33, v3
                                        ; implicit-def: $vgpr33
	s_and_saveexec_b64 s[0:1], s[58:59]
	s_cbranch_execz .LBB10_9
; %bb.8:
	v_add_co_u32_e32 v6, vcc, 0x3000, v4
	s_nop 1
	v_addc_co_u32_e32 v7, vcc, 0, v5, vcc
	global_load_dword v33, v[6:7], off
.LBB10_9:
	s_or_b64 exec, exec, s[0:1]
	v_or_b32_e32 v3, 0x1000, v0
	v_cmp_gt_u32_e64 s[56:57], s33, v3
                                        ; implicit-def: $vgpr32
	s_and_saveexec_b64 s[0:1], s[56:57]
	s_cbranch_execz .LBB10_11
; %bb.10:
	v_add_co_u32_e32 v6, vcc, 0x4000, v4
	s_nop 1
	v_addc_co_u32_e32 v7, vcc, 0, v5, vcc
	global_load_dword v32, v[6:7], off
.LBB10_11:
	s_or_b64 exec, exec, s[0:1]
	v_or_b32_e32 v3, 0x1400, v0
	v_cmp_gt_u32_e64 s[54:55], s33, v3
                                        ; implicit-def: $vgpr31
	s_and_saveexec_b64 s[0:1], s[54:55]
	s_cbranch_execz .LBB10_13
; %bb.12:
	v_add_co_u32_e32 v6, vcc, 0x5000, v4
	s_nop 1
	v_addc_co_u32_e32 v7, vcc, 0, v5, vcc
	global_load_dword v31, v[6:7], off
.LBB10_13:
	s_or_b64 exec, exec, s[0:1]
	v_or_b32_e32 v3, 0x1800, v0
	v_cmp_gt_u32_e64 s[52:53], s33, v3
                                        ; implicit-def: $vgpr30
	s_and_saveexec_b64 s[0:1], s[52:53]
	s_cbranch_execz .LBB10_15
; %bb.14:
	v_add_co_u32_e32 v6, vcc, 0x6000, v4
	s_nop 1
	v_addc_co_u32_e32 v7, vcc, 0, v5, vcc
	global_load_dword v30, v[6:7], off
.LBB10_15:
	s_or_b64 exec, exec, s[0:1]
	v_or_b32_e32 v3, 0x1c00, v0
	v_cmp_gt_u32_e64 s[50:51], s33, v3
                                        ; implicit-def: $vgpr29
	s_and_saveexec_b64 s[0:1], s[50:51]
	s_cbranch_execz .LBB10_17
; %bb.16:
	v_add_co_u32_e32 v6, vcc, 0x7000, v4
	s_nop 1
	v_addc_co_u32_e32 v7, vcc, 0, v5, vcc
	global_load_dword v29, v[6:7], off
.LBB10_17:
	s_or_b64 exec, exec, s[0:1]
	v_or_b32_e32 v3, 0x2000, v0
	v_cmp_gt_u32_e64 s[48:49], s33, v3
                                        ; implicit-def: $vgpr28
	s_and_saveexec_b64 s[0:1], s[48:49]
	s_cbranch_execz .LBB10_19
; %bb.18:
	v_add_co_u32_e32 v6, vcc, 0x8000, v4
	s_nop 1
	v_addc_co_u32_e32 v7, vcc, 0, v5, vcc
	global_load_dword v28, v[6:7], off
.LBB10_19:
	s_or_b64 exec, exec, s[0:1]
	v_or_b32_e32 v3, 0x2400, v0
	v_cmp_gt_u32_e64 s[46:47], s33, v3
                                        ; implicit-def: $vgpr27
	s_and_saveexec_b64 s[0:1], s[46:47]
	s_cbranch_execz .LBB10_21
; %bb.20:
	v_add_co_u32_e32 v6, vcc, 0x9000, v4
	s_nop 1
	v_addc_co_u32_e32 v7, vcc, 0, v5, vcc
	global_load_dword v27, v[6:7], off
.LBB10_21:
	s_or_b64 exec, exec, s[0:1]
	v_or_b32_e32 v3, 0x2800, v0
	v_cmp_gt_u32_e64 s[44:45], s33, v3
                                        ; implicit-def: $vgpr26
	s_and_saveexec_b64 s[0:1], s[44:45]
	s_cbranch_execz .LBB10_23
; %bb.22:
	v_add_co_u32_e32 v6, vcc, 0xa000, v4
	s_nop 1
	v_addc_co_u32_e32 v7, vcc, 0, v5, vcc
	global_load_dword v26, v[6:7], off
.LBB10_23:
	s_or_b64 exec, exec, s[0:1]
	v_or_b32_e32 v3, 0x2c00, v0
	v_cmp_gt_u32_e64 s[42:43], s33, v3
                                        ; implicit-def: $vgpr25
	s_and_saveexec_b64 s[0:1], s[42:43]
	s_cbranch_execz .LBB10_25
; %bb.24:
	v_add_co_u32_e32 v6, vcc, 0xb000, v4
	s_nop 1
	v_addc_co_u32_e32 v7, vcc, 0, v5, vcc
	global_load_dword v25, v[6:7], off
.LBB10_25:
	s_or_b64 exec, exec, s[0:1]
	v_or_b32_e32 v3, 0x3000, v0
	v_cmp_gt_u32_e64 s[40:41], s33, v3
                                        ; implicit-def: $vgpr24
	s_and_saveexec_b64 s[0:1], s[40:41]
	s_cbranch_execz .LBB10_27
; %bb.26:
	v_add_co_u32_e32 v6, vcc, 0xc000, v4
	s_nop 1
	v_addc_co_u32_e32 v7, vcc, 0, v5, vcc
	global_load_dword v24, v[6:7], off
.LBB10_27:
	s_or_b64 exec, exec, s[0:1]
	v_or_b32_e32 v3, 0x3400, v0
	v_cmp_gt_u32_e64 s[38:39], s33, v3
                                        ; implicit-def: $vgpr23
	s_and_saveexec_b64 s[0:1], s[38:39]
	s_cbranch_execz .LBB10_29
; %bb.28:
	v_add_co_u32_e32 v6, vcc, 0xd000, v4
	s_nop 1
	v_addc_co_u32_e32 v7, vcc, 0, v5, vcc
	global_load_dword v23, v[6:7], off
.LBB10_29:
	s_or_b64 exec, exec, s[0:1]
	v_or_b32_e32 v3, 0x3800, v0
	v_cmp_gt_u32_e64 s[36:37], s33, v3
                                        ; implicit-def: $vgpr22
	s_and_saveexec_b64 s[0:1], s[36:37]
	s_cbranch_execz .LBB10_31
; %bb.30:
	v_add_co_u32_e32 v6, vcc, 0xe000, v4
	s_nop 1
	v_addc_co_u32_e32 v7, vcc, 0, v5, vcc
	global_load_dword v22, v[6:7], off
.LBB10_31:
	s_or_b64 exec, exec, s[0:1]
	v_or_b32_e32 v3, 0x3c00, v0
	v_cmp_gt_u32_e64 s[34:35], s33, v3
                                        ; implicit-def: $vgpr21
	s_and_saveexec_b64 s[0:1], s[34:35]
	s_cbranch_execz .LBB10_33
; %bb.32:
	v_add_co_u32_e32 v6, vcc, 0xf000, v4
	s_nop 1
	v_addc_co_u32_e32 v7, vcc, 0, v5, vcc
	global_load_dword v21, v[6:7], off
.LBB10_33:
	s_or_b64 exec, exec, s[0:1]
	v_or_b32_e32 v3, 0x4000, v0
	v_cmp_gt_u32_e64 s[30:31], s33, v3
                                        ; implicit-def: $vgpr20
	s_and_saveexec_b64 s[0:1], s[30:31]
	s_cbranch_execz .LBB10_35
; %bb.34:
	v_add_co_u32_e32 v6, vcc, 0x10000, v4
	s_nop 1
	v_addc_co_u32_e32 v7, vcc, 0, v5, vcc
	global_load_dword v20, v[6:7], off
.LBB10_35:
	s_or_b64 exec, exec, s[0:1]
	v_or_b32_e32 v3, 0x4400, v0
	v_cmp_gt_u32_e64 s[28:29], s33, v3
                                        ; implicit-def: $vgpr19
	s_and_saveexec_b64 s[0:1], s[28:29]
	s_cbranch_execz .LBB10_37
; %bb.36:
	v_add_co_u32_e32 v6, vcc, 0x11000, v4
	s_nop 1
	v_addc_co_u32_e32 v7, vcc, 0, v5, vcc
	global_load_dword v19, v[6:7], off
.LBB10_37:
	s_or_b64 exec, exec, s[0:1]
	v_or_b32_e32 v3, 0x4800, v0
	v_cmp_gt_u32_e64 s[26:27], s33, v3
                                        ; implicit-def: $vgpr18
	s_and_saveexec_b64 s[0:1], s[26:27]
	s_cbranch_execz .LBB10_39
; %bb.38:
	v_add_co_u32_e32 v6, vcc, 0x12000, v4
	s_nop 1
	v_addc_co_u32_e32 v7, vcc, 0, v5, vcc
	global_load_dword v18, v[6:7], off
.LBB10_39:
	s_or_b64 exec, exec, s[0:1]
	v_or_b32_e32 v3, 0x4c00, v0
	v_cmp_gt_u32_e64 s[24:25], s33, v3
                                        ; implicit-def: $vgpr17
	s_and_saveexec_b64 s[0:1], s[24:25]
	s_cbranch_execz .LBB10_41
; %bb.40:
	v_add_co_u32_e32 v6, vcc, 0x13000, v4
	s_nop 1
	v_addc_co_u32_e32 v7, vcc, 0, v5, vcc
	global_load_dword v17, v[6:7], off
.LBB10_41:
	s_or_b64 exec, exec, s[0:1]
	v_or_b32_e32 v3, 0x5000, v0
	v_cmp_gt_u32_e64 s[22:23], s33, v3
                                        ; implicit-def: $vgpr16
	s_and_saveexec_b64 s[0:1], s[22:23]
	s_cbranch_execz .LBB10_43
; %bb.42:
	v_add_co_u32_e32 v6, vcc, 0x14000, v4
	s_nop 1
	v_addc_co_u32_e32 v7, vcc, 0, v5, vcc
	global_load_dword v16, v[6:7], off
.LBB10_43:
	s_or_b64 exec, exec, s[0:1]
	v_or_b32_e32 v3, 0x5400, v0
	v_cmp_gt_u32_e64 s[20:21], s33, v3
                                        ; implicit-def: $vgpr15
	s_and_saveexec_b64 s[0:1], s[20:21]
	s_cbranch_execz .LBB10_45
; %bb.44:
	v_add_co_u32_e32 v6, vcc, 0x15000, v4
	s_nop 1
	v_addc_co_u32_e32 v7, vcc, 0, v5, vcc
	global_load_dword v15, v[6:7], off
.LBB10_45:
	s_or_b64 exec, exec, s[0:1]
	v_or_b32_e32 v3, 0x5800, v0
	v_cmp_gt_u32_e64 s[18:19], s33, v3
                                        ; implicit-def: $vgpr14
	s_and_saveexec_b64 s[0:1], s[18:19]
	s_cbranch_execz .LBB10_47
; %bb.46:
	v_add_co_u32_e32 v6, vcc, 0x16000, v4
	s_nop 1
	v_addc_co_u32_e32 v7, vcc, 0, v5, vcc
	global_load_dword v14, v[6:7], off
.LBB10_47:
	s_or_b64 exec, exec, s[0:1]
	v_or_b32_e32 v3, 0x5c00, v0
	v_cmp_gt_u32_e64 s[16:17], s33, v3
                                        ; implicit-def: $vgpr13
	s_and_saveexec_b64 s[0:1], s[16:17]
	s_cbranch_execz .LBB10_49
; %bb.48:
	v_add_co_u32_e32 v6, vcc, 0x17000, v4
	s_nop 1
	v_addc_co_u32_e32 v7, vcc, 0, v5, vcc
	global_load_dword v13, v[6:7], off
.LBB10_49:
	s_or_b64 exec, exec, s[0:1]
	v_or_b32_e32 v3, 0x6000, v0
	v_cmp_gt_u32_e64 s[14:15], s33, v3
                                        ; implicit-def: $vgpr12
	s_and_saveexec_b64 s[0:1], s[14:15]
	s_cbranch_execz .LBB10_51
; %bb.50:
	v_add_co_u32_e32 v6, vcc, 0x18000, v4
	s_nop 1
	v_addc_co_u32_e32 v7, vcc, 0, v5, vcc
	global_load_dword v12, v[6:7], off
.LBB10_51:
	s_or_b64 exec, exec, s[0:1]
	v_or_b32_e32 v3, 0x6400, v0
	v_cmp_gt_u32_e64 s[12:13], s33, v3
                                        ; implicit-def: $vgpr11
	s_and_saveexec_b64 s[0:1], s[12:13]
	s_cbranch_execz .LBB10_53
; %bb.52:
	v_add_co_u32_e32 v6, vcc, 0x19000, v4
	s_nop 1
	v_addc_co_u32_e32 v7, vcc, 0, v5, vcc
	global_load_dword v11, v[6:7], off
.LBB10_53:
	s_or_b64 exec, exec, s[0:1]
	v_or_b32_e32 v3, 0x6800, v0
	v_cmp_gt_u32_e64 s[10:11], s33, v3
                                        ; implicit-def: $vgpr10
	s_and_saveexec_b64 s[0:1], s[10:11]
	s_cbranch_execz .LBB10_55
; %bb.54:
	v_add_co_u32_e32 v6, vcc, 0x1a000, v4
	s_nop 1
	v_addc_co_u32_e32 v7, vcc, 0, v5, vcc
	global_load_dword v10, v[6:7], off
.LBB10_55:
	s_or_b64 exec, exec, s[0:1]
	v_or_b32_e32 v3, 0x6c00, v0
	v_cmp_gt_u32_e64 s[8:9], s33, v3
                                        ; implicit-def: $vgpr9
	s_and_saveexec_b64 s[0:1], s[8:9]
	s_cbranch_execz .LBB10_57
; %bb.56:
	v_add_co_u32_e32 v6, vcc, 0x1b000, v4
	s_nop 1
	v_addc_co_u32_e32 v7, vcc, 0, v5, vcc
	global_load_dword v9, v[6:7], off
.LBB10_57:
	s_or_b64 exec, exec, s[0:1]
	v_or_b32_e32 v3, 0x7000, v0
	v_cmp_gt_u32_e64 s[6:7], s33, v3
                                        ; implicit-def: $vgpr8
	s_and_saveexec_b64 s[0:1], s[6:7]
	s_cbranch_execz .LBB10_59
; %bb.58:
	v_add_co_u32_e32 v6, vcc, 0x1c000, v4
	s_nop 1
	v_addc_co_u32_e32 v7, vcc, 0, v5, vcc
	global_load_dword v8, v[6:7], off
.LBB10_59:
	s_or_b64 exec, exec, s[0:1]
	v_or_b32_e32 v3, 0x7400, v0
	v_cmp_gt_u32_e64 s[4:5], s33, v3
                                        ; implicit-def: $vgpr7
	s_and_saveexec_b64 s[0:1], s[4:5]
	s_cbranch_execz .LBB10_61
; %bb.60:
	v_add_co_u32_e32 v6, vcc, 0x1d000, v4
	s_nop 1
	v_addc_co_u32_e32 v7, vcc, 0, v5, vcc
	global_load_dword v7, v[6:7], off
.LBB10_61:
	s_or_b64 exec, exec, s[0:1]
	v_or_b32_e32 v3, 0x7800, v0
	v_cmp_gt_u32_e64 s[2:3], s33, v3
                                        ; implicit-def: $vgpr6
	s_and_saveexec_b64 s[0:1], s[2:3]
	s_cbranch_execz .LBB10_63
; %bb.62:
	v_add_co_u32_e32 v36, vcc, 0x1e000, v4
	s_nop 1
	v_addc_co_u32_e32 v37, vcc, 0, v5, vcc
	global_load_dword v6, v[36:37], off
.LBB10_63:
	s_or_b64 exec, exec, s[0:1]
	v_or_b32_e32 v3, 0x7c00, v0
	v_cmp_gt_u32_e64 s[0:1], s33, v3
                                        ; implicit-def: $vgpr3
	s_and_saveexec_b64 s[68:69], s[0:1]
	s_cbranch_execz .LBB10_65
; %bb.64:
	v_add_co_u32_e32 v4, vcc, 0x1f000, v4
	s_nop 1
	v_addc_co_u32_e32 v5, vcc, 0, v5, vcc
	global_load_dword v3, v[4:5], off
.LBB10_65:
	s_or_b64 exec, exec, s[68:69]
	s_cmp_gt_u32 s73, s72
	v_mov_b32_e32 v4, 0
	s_cselect_b64 s[68:69], -1, 0
	s_cmp_le_u32 s73, s72
	ds_write2st64_b32 v2, v4, v4 offset1:16
	ds_write2st64_b32 v2, v4, v4 offset0:32 offset1:48
	s_waitcnt lgkmcnt(0)
	s_barrier
	s_cbranch_scc1 .LBB10_194
; %bb.66:
	s_waitcnt vmcnt(0)
	v_xor_b32_e32 v4, 0x7fffffff, v1
	v_and_b32_e32 v1, 3, v0
	v_lshlrev_b32_e32 v1, 2, v1
	s_sub_i32 s33, s73, s72
	v_mov_b32_e32 v5, 1
	s_mov_b32 s76, s33
	v_mov_b32_e32 v36, v1
	s_mov_b32 s77, s72
	s_branch .LBB10_68
.LBB10_67:                              ;   in Loop: Header=BB10_68 Depth=1
	s_or_b64 exec, exec, s[70:71]
	s_add_i32 s77, s77, 8
	s_add_i32 s76, s76, -8
	s_cmp_lt_u32 s77, s73
	v_add_u32_e32 v36, 0x1000, v36
	s_cbranch_scc0 .LBB10_70
.LBB10_68:                              ; =>This Inner Loop Header: Depth=1
	s_and_saveexec_b64 s[70:71], s[64:65]
	s_cbranch_execz .LBB10_67
; %bb.69:                               ;   in Loop: Header=BB10_68 Depth=1
	s_min_u32 s78, s76, 8
	v_lshrrev_b32_e32 v37, s77, v4
	v_bfe_u32 v37, v37, 0, s78
	v_lshl_add_u32 v37, v37, 4, v36
	ds_add_u32 v37, v5
	s_branch .LBB10_67
.LBB10_70:
	v_xor_b32_e32 v4, 0x7fffffff, v35
	v_mov_b32_e32 v5, 1
	s_mov_b32 s70, s33
	v_mov_b32_e32 v35, v1
	s_mov_b32 s71, s72
	s_branch .LBB10_72
.LBB10_71:                              ;   in Loop: Header=BB10_72 Depth=1
	s_or_b64 exec, exec, s[64:65]
	s_add_i32 s71, s71, 8
	s_add_i32 s70, s70, -8
	s_cmp_lt_u32 s71, s73
	v_add_u32_e32 v35, 0x1000, v35
	s_cbranch_scc0 .LBB10_74
.LBB10_72:                              ; =>This Inner Loop Header: Depth=1
	s_and_saveexec_b64 s[64:65], s[62:63]
	s_cbranch_execz .LBB10_71
; %bb.73:                               ;   in Loop: Header=BB10_72 Depth=1
	s_min_u32 s76, s70, 8
	v_lshrrev_b32_e32 v36, s71, v4
	v_bfe_u32 v36, v36, 0, s76
	v_lshl_add_u32 v36, v36, 4, v35
	ds_add_u32 v36, v5
	s_branch .LBB10_71
.LBB10_74:
	v_xor_b32_e32 v4, 0x7fffffff, v34
	;; [unrolled: 24-line block ×8, first 2 shown]
	v_mov_b32_e32 v5, 1
	s_mov_b32 s52, s33
	v_mov_b32_e32 v28, v1
	s_mov_b32 s53, s72
	s_branch .LBB10_100
.LBB10_99:                              ;   in Loop: Header=BB10_100 Depth=1
	s_or_b64 exec, exec, s[50:51]
	s_add_i32 s53, s53, 8
	s_add_i32 s52, s52, -8
	s_cmp_lt_u32 s53, s73
	v_add_u32_e32 v28, 0x1000, v28
	s_cbranch_scc0 .LBB10_102
.LBB10_100:                             ; =>This Inner Loop Header: Depth=1
	s_and_saveexec_b64 s[50:51], s[48:49]
	s_cbranch_execz .LBB10_99
; %bb.101:                              ;   in Loop: Header=BB10_100 Depth=1
	s_min_u32 s54, s52, 8
	v_lshrrev_b32_e32 v29, s53, v4
	v_bfe_u32 v29, v29, 0, s54
	v_lshl_add_u32 v29, v29, 4, v28
	ds_add_u32 v29, v5
	s_branch .LBB10_99
.LBB10_102:
	v_xor_b32_e32 v4, 0x7fffffff, v27
	v_mov_b32_e32 v5, 1
	s_mov_b32 s50, s33
	v_mov_b32_e32 v27, v1
	s_mov_b32 s51, s72
	s_branch .LBB10_104
.LBB10_103:                             ;   in Loop: Header=BB10_104 Depth=1
	s_or_b64 exec, exec, s[48:49]
	s_add_i32 s51, s51, 8
	s_add_i32 s50, s50, -8
	s_cmp_lt_u32 s51, s73
	v_add_u32_e32 v27, 0x1000, v27
	s_cbranch_scc0 .LBB10_106
.LBB10_104:                             ; =>This Inner Loop Header: Depth=1
	s_and_saveexec_b64 s[48:49], s[46:47]
	s_cbranch_execz .LBB10_103
; %bb.105:                              ;   in Loop: Header=BB10_104 Depth=1
	s_min_u32 s52, s50, 8
	v_lshrrev_b32_e32 v28, s51, v4
	v_bfe_u32 v28, v28, 0, s52
	v_lshl_add_u32 v28, v28, 4, v27
	ds_add_u32 v28, v5
	s_branch .LBB10_103
.LBB10_106:
	v_xor_b32_e32 v4, 0x7fffffff, v26
	v_mov_b32_e32 v5, 1
	s_mov_b32 s48, s33
	v_mov_b32_e32 v26, v1
	s_mov_b32 s49, s72
	s_branch .LBB10_108
.LBB10_107:                             ;   in Loop: Header=BB10_108 Depth=1
	s_or_b64 exec, exec, s[46:47]
	s_add_i32 s49, s49, 8
	s_add_i32 s48, s48, -8
	s_cmp_lt_u32 s49, s73
	v_add_u32_e32 v26, 0x1000, v26
	s_cbranch_scc0 .LBB10_110
.LBB10_108:                             ; =>This Inner Loop Header: Depth=1
	s_and_saveexec_b64 s[46:47], s[44:45]
	s_cbranch_execz .LBB10_107
; %bb.109:                              ;   in Loop: Header=BB10_108 Depth=1
	s_min_u32 s50, s48, 8
	v_lshrrev_b32_e32 v27, s49, v4
	v_bfe_u32 v27, v27, 0, s50
	v_lshl_add_u32 v27, v27, 4, v26
	ds_add_u32 v27, v5
	s_branch .LBB10_107
.LBB10_110:
	;; [unrolled: 24-line block ×22, first 2 shown]
	v_xor_b32_e32 v3, 0x7fffffff, v3
	v_mov_b32_e32 v4, 1
	s_mov_b32 s4, s72
	s_branch .LBB10_192
.LBB10_191:                             ;   in Loop: Header=BB10_192 Depth=1
	s_or_b64 exec, exec, s[2:3]
	s_add_i32 s4, s4, 8
	s_add_i32 s33, s33, -8
	s_cmp_lt_u32 s4, s73
	v_add_u32_e32 v1, 0x1000, v1
	s_cbranch_scc0 .LBB10_194
.LBB10_192:                             ; =>This Inner Loop Header: Depth=1
	s_and_saveexec_b64 s[2:3], s[0:1]
	s_cbranch_execz .LBB10_191
; %bb.193:                              ;   in Loop: Header=BB10_192 Depth=1
	s_min_u32 s5, s33, 8
	v_lshrrev_b32_e32 v5, s4, v3
	v_bfe_u32 v5, v5, 0, s5
	v_lshl_add_u32 v5, v5, 4, v1
	ds_add_u32 v5, v4
	s_branch .LBB10_191
.LBB10_194:
	s_and_b64 vcc, exec, s[68:69]
	s_waitcnt lgkmcnt(0)
	s_barrier
	s_cbranch_vccz .LBB10_199
; %bb.195:
	s_movk_i32 s0, 0x100
	v_cmp_gt_u32_e32 vcc, s0, v0
	s_waitcnt vmcnt(0)
	v_lshlrev_b32_e32 v1, 4, v0
	v_mov_b32_e32 v5, 0
	v_mov_b32_e32 v4, v0
	s_mov_b32 s2, s72
	s_branch .LBB10_197
.LBB10_196:                             ;   in Loop: Header=BB10_197 Depth=1
	s_or_b64 exec, exec, s[0:1]
	s_add_i32 s2, s2, 8
	v_add_u32_e32 v4, 0x100, v4
	s_cmp_lt_u32 s2, s73
	v_add_u32_e32 v1, 0x1000, v1
	s_cbranch_scc0 .LBB10_199
.LBB10_197:                             ; =>This Inner Loop Header: Depth=1
	s_and_saveexec_b64 s[0:1], vcc
	s_cbranch_execz .LBB10_196
; %bb.198:                              ;   in Loop: Header=BB10_197 Depth=1
	ds_read2_b32 v[6:7], v1 offset1:1
	ds_read2_b32 v[8:9], v1 offset0:2 offset1:3
	v_lshl_add_u64 v[10:11], v[4:5], 3, s[66:67]
	s_waitcnt lgkmcnt(1)
	v_add_u32_e32 v3, v7, v6
	s_waitcnt lgkmcnt(0)
	v_add3_u32 v6, v3, v8, v9
	v_mov_b32_e32 v7, v5
	global_atomic_add_x2 v[10:11], v[6:7], off
	s_branch .LBB10_196
.LBB10_199:
	s_mov_b64 s[0:1], 0
.LBB10_200:
	s_and_b64 vcc, exec, s[0:1]
	s_cbranch_vccz .LBB10_276
; %bb.201:
	s_waitcnt vmcnt(0)
	v_mov_b32_e32 v3, 0
	v_lshl_add_u64 v[4:5], s[74:75], 0, v[2:3]
	v_add_co_u32_e32 v14, vcc, 0x1000, v4
	s_cmp_eq_u32 s72, 0
	s_nop 0
	v_addc_co_u32_e32 v15, vcc, 0, v5, vcc
	v_add_co_u32_e32 v16, vcc, 0x2000, v4
	s_cselect_b64 s[0:1], -1, 0
	s_nop 0
	v_addc_co_u32_e32 v17, vcc, 0, v5, vcc
	v_add_co_u32_e32 v18, vcc, 0x3000, v4
	s_cmp_eq_u32 s73, 32
	s_nop 0
	v_addc_co_u32_e32 v19, vcc, 0, v5, vcc
	v_add_co_u32_e32 v20, vcc, 0x4000, v4
	s_cselect_b64 s[2:3], -1, 0
	s_nop 0
	v_addc_co_u32_e32 v21, vcc, 0, v5, vcc
	v_add_co_u32_e32 v22, vcc, 0x5000, v4
	s_and_b64 s[2:3], s[0:1], s[2:3]
	s_nop 0
	v_addc_co_u32_e32 v23, vcc, 0, v5, vcc
	v_add_co_u32_e32 v24, vcc, 0x6000, v4
	s_mov_b64 s[0:1], -1
	s_nop 0
	v_addc_co_u32_e32 v25, vcc, 0, v5, vcc
	v_add_co_u32_e32 v26, vcc, 0x7000, v4
	s_nop 1
	v_addc_co_u32_e32 v27, vcc, 0, v5, vcc
	v_add_co_u32_e32 v28, vcc, 0x8000, v4
	s_nop 1
	v_addc_co_u32_e32 v29, vcc, 0, v5, vcc
	global_load_dword v6, v[14:15], off
	global_load_dword v7, v[16:17], off
	global_load_dword v8, v[18:19], off
	global_load_dword v9, v[20:21], off
	global_load_dword v10, v[22:23], off
	global_load_dword v11, v[24:25], off
	global_load_dword v12, v[26:27], off
	global_load_dword v13, v[28:29], off
	v_add_co_u32_e32 v22, vcc, 0x9000, v4
	s_nop 1
	v_addc_co_u32_e32 v23, vcc, 0, v5, vcc
	v_add_co_u32_e32 v24, vcc, 0xa000, v4
	s_nop 1
	v_addc_co_u32_e32 v25, vcc, 0, v5, vcc
	v_add_co_u32_e32 v26, vcc, 0xb000, v4
	s_nop 1
	v_addc_co_u32_e32 v27, vcc, 0, v5, vcc
	v_add_co_u32_e32 v28, vcc, 0xc000, v4
	s_nop 1
	v_addc_co_u32_e32 v29, vcc, 0, v5, vcc
	v_add_co_u32_e32 v30, vcc, 0xd000, v4
	s_nop 1
	v_addc_co_u32_e32 v31, vcc, 0, v5, vcc
	v_add_co_u32_e32 v32, vcc, 0xe000, v4
	s_nop 1
	v_addc_co_u32_e32 v33, vcc, 0, v5, vcc
	v_add_co_u32_e32 v34, vcc, 0xf000, v4
	s_nop 1
	v_addc_co_u32_e32 v35, vcc, 0, v5, vcc
	v_add_co_u32_e32 v36, vcc, 0x10000, v4
	s_nop 1
	v_addc_co_u32_e32 v37, vcc, 0, v5, vcc
	global_load_dword v14, v[22:23], off
	global_load_dword v15, v[24:25], off
	global_load_dword v16, v[26:27], off
	global_load_dword v17, v[28:29], off
	global_load_dword v18, v[30:31], off
	global_load_dword v19, v[32:33], off
	global_load_dword v20, v[34:35], off
	global_load_dword v21, v[36:37], off
	v_add_co_u32_e32 v30, vcc, 0x11000, v4
	s_nop 1
	v_addc_co_u32_e32 v31, vcc, 0, v5, vcc
	v_add_co_u32_e32 v32, vcc, 0x12000, v4
	s_nop 1
	v_addc_co_u32_e32 v33, vcc, 0, v5, vcc
	v_add_co_u32_e32 v34, vcc, 0x13000, v4
	s_nop 1
	v_addc_co_u32_e32 v35, vcc, 0, v5, vcc
	v_add_co_u32_e32 v36, vcc, 0x14000, v4
	s_nop 1
	v_addc_co_u32_e32 v37, vcc, 0, v5, vcc
	v_add_co_u32_e32 v38, vcc, 0x15000, v4
	s_nop 1
	v_addc_co_u32_e32 v39, vcc, 0, v5, vcc
	v_add_co_u32_e32 v40, vcc, 0x16000, v4
	;; [unrolled: 32-line block ×3, first 2 shown]
	s_nop 1
	v_addc_co_u32_e32 v47, vcc, 0, v5, vcc
	global_load_dword v30, v[36:37], off
	global_load_dword v31, v[38:39], off
	;; [unrolled: 1-line block ×6, first 2 shown]
	v_add_co_u32_e32 v4, vcc, 0x1f000, v4
	s_nop 1
	v_addc_co_u32_e32 v5, vcc, 0, v5, vcc
	global_load_dword v37, v2, s[74:75]
	global_load_dword v36, v[4:5], off
	s_and_b64 vcc, exec, s[2:3]
	s_cbranch_vccnz .LBB10_273
; %bb.202:
	s_cmp_gt_u32 s73, s72
	s_cselect_b64 s[0:1], -1, 0
	s_cmp_le_u32 s73, s72
	ds_write2st64_b32 v2, v3, v3 offset1:16
	ds_write2st64_b32 v2, v3, v3 offset0:32 offset1:48
	s_waitcnt lgkmcnt(0)
	s_barrier
	s_cbranch_scc1 .LBB10_267
; %bb.203:
	v_and_b32_e32 v1, 3, v0
	v_lshlrev_b32_e32 v1, 2, v1
	s_sub_i32 s2, s73, s72
	s_waitcnt vmcnt(1)
	v_xor_b32_e32 v3, 0x7fffffff, v37
	v_mov_b32_e32 v4, 1
	s_mov_b32 s3, s2
	v_mov_b32_e32 v5, v1
	s_mov_b32 s4, s72
.LBB10_204:                             ; =>This Inner Loop Header: Depth=1
	s_min_u32 s5, s3, 8
	v_lshrrev_b32_e32 v38, s4, v3
	v_bfe_u32 v38, v38, 0, s5
	v_lshl_add_u32 v38, v38, 4, v5
	ds_add_u32 v38, v4
	s_add_i32 s4, s4, 8
	s_add_i32 s3, s3, -8
	s_cmp_lt_u32 s4, s73
	v_add_u32_e32 v5, 0x1000, v5
	s_cbranch_scc1 .LBB10_204
; %bb.205:
	v_xor_b32_e32 v3, 0x7fffffff, v6
	v_mov_b32_e32 v4, 1
	s_mov_b32 s3, s2
	v_mov_b32_e32 v5, v1
	s_mov_b32 s4, s72
.LBB10_206:                             ; =>This Inner Loop Header: Depth=1
	s_min_u32 s5, s3, 8
	v_lshrrev_b32_e32 v38, s4, v3
	v_bfe_u32 v38, v38, 0, s5
	v_lshl_add_u32 v38, v38, 4, v5
	ds_add_u32 v38, v4
	s_add_i32 s4, s4, 8
	s_add_i32 s3, s3, -8
	s_cmp_lt_u32 s4, s73
	v_add_u32_e32 v5, 0x1000, v5
	s_cbranch_scc1 .LBB10_206
; %bb.207:
	;; [unrolled: 17-line block ×31, first 2 shown]
	s_waitcnt vmcnt(0)
	v_xor_b32_e32 v3, 0x7fffffff, v36
	v_mov_b32_e32 v4, 1
	s_mov_b32 s3, s72
.LBB10_266:                             ; =>This Inner Loop Header: Depth=1
	s_min_u32 s4, s2, 8
	v_lshrrev_b32_e32 v5, s3, v3
	v_bfe_u32 v5, v5, 0, s4
	v_lshl_add_u32 v5, v5, 4, v1
	ds_add_u32 v5, v4
	s_add_i32 s3, s3, 8
	s_add_i32 s2, s2, -8
	s_cmp_lt_u32 s3, s73
	v_add_u32_e32 v1, 0x1000, v1
	s_cbranch_scc1 .LBB10_266
.LBB10_267:
	s_and_b64 vcc, exec, s[0:1]
	s_waitcnt lgkmcnt(0)
	s_barrier
	s_cbranch_vccz .LBB10_272
; %bb.268:
	s_movk_i32 s0, 0x100
	v_cmp_gt_u32_e32 vcc, s0, v0
	v_lshlrev_b32_e32 v1, 4, v0
	v_mov_b32_e32 v5, 0
	v_mov_b32_e32 v4, v0
	s_branch .LBB10_270
.LBB10_269:                             ;   in Loop: Header=BB10_270 Depth=1
	s_or_b64 exec, exec, s[0:1]
	s_add_i32 s72, s72, 8
	v_add_u32_e32 v4, 0x100, v4
	s_cmp_ge_u32 s72, s73
	v_add_u32_e32 v1, 0x1000, v1
	s_cbranch_scc1 .LBB10_272
.LBB10_270:                             ; =>This Inner Loop Header: Depth=1
	s_and_saveexec_b64 s[0:1], vcc
	s_cbranch_execz .LBB10_269
; %bb.271:                              ;   in Loop: Header=BB10_270 Depth=1
	ds_read2_b32 v[38:39], v1 offset1:1
	ds_read2_b32 v[40:41], v1 offset0:2 offset1:3
	v_lshl_add_u64 v[42:43], v[4:5], 3, s[66:67]
	s_waitcnt lgkmcnt(1)
	v_add_u32_e32 v3, v39, v38
	s_waitcnt lgkmcnt(0)
	v_add3_u32 v38, v3, v40, v41
	v_mov_b32_e32 v39, v5
	global_atomic_add_x2 v[42:43], v[38:39], off
	s_branch .LBB10_269
.LBB10_272:
	s_mov_b64 s[0:1], 0
.LBB10_273:
	s_and_b64 vcc, exec, s[0:1]
	s_cbranch_vccz .LBB10_276
; %bb.274:
	s_waitcnt vmcnt(1)
	v_xor_b32_e32 v38, 0x7fffffff, v37
	v_and_b32_e32 v3, 3, v0
	v_lshlrev_b32_e32 v4, 2, v38
	s_movk_i32 s0, 0x3fc
	v_and_or_b32 v4, v4, s0, v3
	v_mov_b32_e32 v1, 0
	v_xor_b32_e32 v37, 0x7fffffff, v19
	v_xor_b32_e32 v19, 0x7fffffff, v21
	v_lshlrev_b32_e32 v21, 2, v4
	v_mov_b32_e32 v4, 1
	ds_write2st64_b32 v2, v1, v1 offset1:16
	ds_write2st64_b32 v2, v1, v1 offset0:32 offset1:48
	s_waitcnt lgkmcnt(0)
	s_barrier
	ds_add_u32 v21, v4
	v_bfe_u32 v21, v38, 8, 8
	v_lshl_or_b32 v21, v21, 2, v3
	v_lshlrev_b32_e32 v21, 2, v21
	ds_add_u32 v21, v4 offset:4096
	v_bfe_u32 v21, v38, 16, 8
	v_lshl_or_b32 v21, v21, 2, v3
	v_lshlrev_b32_e32 v21, 2, v21
	ds_add_u32 v21, v4 offset:8192
	v_lshrrev_b32_e32 v21, 24, v38
	v_lshl_or_b32 v21, v21, 2, v3
	v_xor_b32_e32 v39, 0x7fffffff, v6
	v_lshlrev_b32_e32 v21, 2, v21
	ds_add_u32 v21, v4 offset:12288
	v_lshlrev_b32_e32 v21, 2, v39
	v_and_or_b32 v21, v21, s0, v3
	v_lshlrev_b32_e32 v21, 2, v21
	ds_add_u32 v21, v4
	v_bfe_u32 v21, v39, 8, 8
	v_lshl_or_b32 v21, v21, 2, v3
	v_lshlrev_b32_e32 v21, 2, v21
	ds_add_u32 v21, v4 offset:4096
	v_bfe_u32 v21, v39, 16, 8
	v_lshl_or_b32 v21, v21, 2, v3
	v_lshlrev_b32_e32 v21, 2, v21
	ds_add_u32 v21, v4 offset:8192
	v_lshrrev_b32_e32 v21, 24, v39
	v_lshl_or_b32 v21, v21, 2, v3
	v_xor_b32_e32 v40, 0x7fffffff, v7
	v_lshlrev_b32_e32 v21, 2, v21
	ds_add_u32 v21, v4 offset:12288
	v_lshlrev_b32_e32 v21, 2, v40
	v_and_or_b32 v21, v21, s0, v3
	v_lshlrev_b32_e32 v21, 2, v21
	;; [unrolled: 17-line block ×13, first 2 shown]
	ds_add_u32 v21, v4
	v_bfe_u32 v21, v51, 8, 8
	v_lshl_or_b32 v21, v21, 2, v3
	v_lshlrev_b32_e32 v21, 2, v21
	ds_add_u32 v21, v4 offset:4096
	v_bfe_u32 v21, v51, 16, 8
	v_lshl_or_b32 v21, v21, 2, v3
	v_lshlrev_b32_e32 v21, 2, v21
	ds_add_u32 v21, v4 offset:8192
	v_lshrrev_b32_e32 v21, 24, v51
	v_lshl_or_b32 v21, v21, 2, v3
	v_lshlrev_b32_e32 v21, 2, v21
	ds_add_u32 v21, v4 offset:12288
	v_lshlrev_b32_e32 v21, 2, v37
	v_and_or_b32 v21, v21, s0, v3
	v_lshlrev_b32_e32 v21, 2, v21
	ds_add_u32 v21, v4
	v_bfe_u32 v21, v37, 8, 8
	v_lshl_or_b32 v21, v21, 2, v3
	v_lshlrev_b32_e32 v21, 2, v21
	ds_add_u32 v21, v4 offset:4096
	v_bfe_u32 v21, v37, 16, 8
	v_lshl_or_b32 v21, v21, 2, v3
	v_lshlrev_b32_e32 v21, 2, v21
	ds_add_u32 v21, v4 offset:8192
	v_lshrrev_b32_e32 v21, 24, v37
	v_lshl_or_b32 v21, v21, 2, v3
	v_xor_b32_e32 v20, 0x7fffffff, v20
	v_lshlrev_b32_e32 v21, 2, v21
	ds_add_u32 v21, v4 offset:12288
	v_lshlrev_b32_e32 v21, 2, v20
	v_and_or_b32 v21, v21, s0, v3
	v_lshlrev_b32_e32 v21, 2, v21
	ds_add_u32 v21, v4
	v_bfe_u32 v21, v20, 8, 8
	v_lshl_or_b32 v21, v21, 2, v3
	v_lshlrev_b32_e32 v21, 2, v21
	ds_add_u32 v21, v4 offset:4096
	v_bfe_u32 v21, v20, 16, 8
	v_lshl_or_b32 v21, v21, 2, v3
	v_lshrrev_b32_e32 v20, 24, v20
	v_lshlrev_b32_e32 v21, 2, v21
	v_lshl_or_b32 v20, v20, 2, v3
	ds_add_u32 v21, v4 offset:8192
	v_lshlrev_b32_e32 v20, 2, v20
	ds_add_u32 v20, v4 offset:12288
	v_lshlrev_b32_e32 v20, 2, v19
	v_and_or_b32 v20, v20, s0, v3
	v_lshlrev_b32_e32 v20, 2, v20
	ds_add_u32 v20, v4
	v_bfe_u32 v20, v19, 8, 8
	v_lshl_or_b32 v20, v20, 2, v3
	v_lshlrev_b32_e32 v20, 2, v20
	ds_add_u32 v20, v4 offset:4096
	v_bfe_u32 v20, v19, 16, 8
	v_lshl_or_b32 v20, v20, 2, v3
	v_lshrrev_b32_e32 v19, 24, v19
	v_lshlrev_b32_e32 v20, 2, v20
	v_lshl_or_b32 v19, v19, 2, v3
	v_xor_b32_e32 v18, 0x7fffffff, v22
	ds_add_u32 v20, v4 offset:8192
	v_lshlrev_b32_e32 v19, 2, v19
	ds_add_u32 v19, v4 offset:12288
	v_lshlrev_b32_e32 v19, 2, v18
	v_and_or_b32 v19, v19, s0, v3
	v_lshlrev_b32_e32 v19, 2, v19
	ds_add_u32 v19, v4
	v_bfe_u32 v19, v18, 8, 8
	v_lshl_or_b32 v19, v19, 2, v3
	v_lshlrev_b32_e32 v19, 2, v19
	ds_add_u32 v19, v4 offset:4096
	v_bfe_u32 v19, v18, 16, 8
	v_lshl_or_b32 v19, v19, 2, v3
	v_lshrrev_b32_e32 v18, 24, v18
	v_lshlrev_b32_e32 v19, 2, v19
	v_lshl_or_b32 v18, v18, 2, v3
	v_xor_b32_e32 v17, 0x7fffffff, v23
	;; [unrolled: 17-line block ×14, first 2 shown]
	ds_add_u32 v7, v4 offset:8192
	v_lshlrev_b32_e32 v6, 2, v6
	ds_add_u32 v6, v4 offset:12288
	v_lshlrev_b32_e32 v6, 2, v5
	v_and_or_b32 v6, v6, s0, v3
	v_lshlrev_b32_e32 v6, 2, v6
	ds_add_u32 v6, v4
	v_bfe_u32 v6, v5, 8, 8
	v_lshl_or_b32 v6, v6, 2, v3
	v_lshlrev_b32_e32 v6, 2, v6
	ds_add_u32 v6, v4 offset:4096
	v_bfe_u32 v6, v5, 16, 8
	v_lshl_or_b32 v6, v6, 2, v3
	v_lshrrev_b32_e32 v5, 24, v5
	v_lshlrev_b32_e32 v6, 2, v6
	v_lshl_or_b32 v5, v5, 2, v3
	s_waitcnt vmcnt(0)
	v_xor_b32_e32 v2, 0x7fffffff, v36
	ds_add_u32 v6, v4 offset:8192
	v_lshlrev_b32_e32 v5, 2, v5
	ds_add_u32 v5, v4 offset:12288
	v_lshlrev_b32_e32 v5, 2, v2
	v_and_or_b32 v5, v5, s0, v3
	v_lshlrev_b32_e32 v5, 2, v5
	ds_add_u32 v5, v4
	v_bfe_u32 v5, v2, 8, 8
	v_lshl_or_b32 v5, v5, 2, v3
	v_lshlrev_b32_e32 v5, 2, v5
	ds_add_u32 v5, v4 offset:4096
	v_bfe_u32 v5, v2, 16, 8
	v_lshl_or_b32 v5, v5, 2, v3
	v_lshrrev_b32_e32 v2, 24, v2
	v_lshlrev_b32_e32 v5, 2, v5
	v_lshl_or_b32 v2, v2, 2, v3
	ds_add_u32 v5, v4 offset:8192
	v_lshlrev_b32_e32 v2, 2, v2
	ds_add_u32 v2, v4 offset:12288
	s_movk_i32 s0, 0x100
	v_cmp_gt_u32_e32 vcc, s0, v0
	s_waitcnt lgkmcnt(0)
	s_barrier
	s_and_saveexec_b64 s[0:1], vcc
	s_cbranch_execz .LBB10_276
; %bb.275:
	v_lshlrev_b32_e32 v6, 4, v0
	ds_read2_b32 v[2:3], v6 offset1:1
	ds_read2_b32 v[4:5], v6 offset0:2 offset1:3
	v_lshlrev_b32_e32 v7, 3, v0
	v_add_u32_e32 v8, 0x1000, v6
	v_add_u32_e32 v9, 0x1008, v6
	s_waitcnt lgkmcnt(1)
	v_add_u32_e32 v0, v3, v2
	s_waitcnt lgkmcnt(0)
	v_add3_u32 v0, v0, v4, v5
	global_atomic_add_x2 v7, v[0:1], s[66:67]
	ds_read2_b32 v[2:3], v8 offset1:1
	ds_read2_b32 v[4:5], v9 offset1:1
	v_add_u32_e32 v8, 0x2000, v6
	v_add_u32_e32 v9, 0x2008, v6
	s_waitcnt lgkmcnt(1)
	v_add_u32_e32 v0, v3, v2
	s_waitcnt lgkmcnt(0)
	v_add3_u32 v0, v0, v4, v5
	global_atomic_add_x2 v7, v[0:1], s[66:67] offset:2048
	ds_read2_b32 v[2:3], v8 offset1:1
	ds_read2_b32 v[4:5], v9 offset1:1
	v_or_b32_e32 v8, 0x1000, v7
	v_add_u32_e32 v9, 0x3000, v6
	v_add_u32_e32 v6, 0x3008, v6
	s_waitcnt lgkmcnt(1)
	v_add_u32_e32 v0, v3, v2
	s_waitcnt lgkmcnt(0)
	v_add3_u32 v0, v0, v4, v5
	global_atomic_add_x2 v8, v[0:1], s[66:67]
	ds_read2_b32 v[2:3], v9 offset1:1
	ds_read2_b32 v[4:5], v6 offset1:1
	s_waitcnt lgkmcnt(1)
	v_add_u32_e32 v0, v3, v2
	s_waitcnt lgkmcnt(0)
	v_add3_u32 v0, v0, v4, v5
	v_or_b32_e32 v2, 0x1800, v7
	global_atomic_add_x2 v2, v[0:1], s[66:67]
.LBB10_276:
	s_endpgm
	.section	.rodata,"a",@progbits
	.p2align	6, 0x0
	.amdhsa_kernel _ZN7rocprim17ROCPRIM_304000_NS6detail26onesweep_histograms_kernelINS1_34wrapped_radix_sort_onesweep_configINS0_14default_configEiN2at4cuda3cub6detail10OpaqueTypeILi1EEEEELb1EPKimNS0_19identity_decomposerEEEvT1_PT2_SG_SG_T3_jj
		.amdhsa_group_segment_fixed_size 16384
		.amdhsa_private_segment_fixed_size 0
		.amdhsa_kernarg_size 44
		.amdhsa_user_sgpr_count 2
		.amdhsa_user_sgpr_dispatch_ptr 0
		.amdhsa_user_sgpr_queue_ptr 0
		.amdhsa_user_sgpr_kernarg_segment_ptr 1
		.amdhsa_user_sgpr_dispatch_id 0
		.amdhsa_user_sgpr_kernarg_preload_length 0
		.amdhsa_user_sgpr_kernarg_preload_offset 0
		.amdhsa_user_sgpr_private_segment_size 0
		.amdhsa_uses_dynamic_stack 0
		.amdhsa_enable_private_segment 0
		.amdhsa_system_sgpr_workgroup_id_x 1
		.amdhsa_system_sgpr_workgroup_id_y 0
		.amdhsa_system_sgpr_workgroup_id_z 0
		.amdhsa_system_sgpr_workgroup_info 0
		.amdhsa_system_vgpr_workitem_id 0
		.amdhsa_next_free_vgpr 52
		.amdhsa_next_free_sgpr 79
		.amdhsa_accum_offset 52
		.amdhsa_reserve_vcc 1
		.amdhsa_float_round_mode_32 0
		.amdhsa_float_round_mode_16_64 0
		.amdhsa_float_denorm_mode_32 3
		.amdhsa_float_denorm_mode_16_64 3
		.amdhsa_dx10_clamp 1
		.amdhsa_ieee_mode 1
		.amdhsa_fp16_overflow 0
		.amdhsa_tg_split 0
		.amdhsa_exception_fp_ieee_invalid_op 0
		.amdhsa_exception_fp_denorm_src 0
		.amdhsa_exception_fp_ieee_div_zero 0
		.amdhsa_exception_fp_ieee_overflow 0
		.amdhsa_exception_fp_ieee_underflow 0
		.amdhsa_exception_fp_ieee_inexact 0
		.amdhsa_exception_int_div_zero 0
	.end_amdhsa_kernel
	.section	.text._ZN7rocprim17ROCPRIM_304000_NS6detail26onesweep_histograms_kernelINS1_34wrapped_radix_sort_onesweep_configINS0_14default_configEiN2at4cuda3cub6detail10OpaqueTypeILi1EEEEELb1EPKimNS0_19identity_decomposerEEEvT1_PT2_SG_SG_T3_jj,"axG",@progbits,_ZN7rocprim17ROCPRIM_304000_NS6detail26onesweep_histograms_kernelINS1_34wrapped_radix_sort_onesweep_configINS0_14default_configEiN2at4cuda3cub6detail10OpaqueTypeILi1EEEEELb1EPKimNS0_19identity_decomposerEEEvT1_PT2_SG_SG_T3_jj,comdat
.Lfunc_end10:
	.size	_ZN7rocprim17ROCPRIM_304000_NS6detail26onesweep_histograms_kernelINS1_34wrapped_radix_sort_onesweep_configINS0_14default_configEiN2at4cuda3cub6detail10OpaqueTypeILi1EEEEELb1EPKimNS0_19identity_decomposerEEEvT1_PT2_SG_SG_T3_jj, .Lfunc_end10-_ZN7rocprim17ROCPRIM_304000_NS6detail26onesweep_histograms_kernelINS1_34wrapped_radix_sort_onesweep_configINS0_14default_configEiN2at4cuda3cub6detail10OpaqueTypeILi1EEEEELb1EPKimNS0_19identity_decomposerEEEvT1_PT2_SG_SG_T3_jj
                                        ; -- End function
	.section	.AMDGPU.csdata,"",@progbits
; Kernel info:
; codeLenInByte = 12600
; NumSgprs: 85
; NumVgprs: 52
; NumAgprs: 0
; TotalNumVgprs: 52
; ScratchSize: 0
; MemoryBound: 0
; FloatMode: 240
; IeeeMode: 1
; LDSByteSize: 16384 bytes/workgroup (compile time only)
; SGPRBlocks: 10
; VGPRBlocks: 6
; NumSGPRsForWavesPerEU: 85
; NumVGPRsForWavesPerEU: 52
; AccumOffset: 52
; Occupancy: 8
; WaveLimiterHint : 1
; COMPUTE_PGM_RSRC2:SCRATCH_EN: 0
; COMPUTE_PGM_RSRC2:USER_SGPR: 2
; COMPUTE_PGM_RSRC2:TRAP_HANDLER: 0
; COMPUTE_PGM_RSRC2:TGID_X_EN: 1
; COMPUTE_PGM_RSRC2:TGID_Y_EN: 0
; COMPUTE_PGM_RSRC2:TGID_Z_EN: 0
; COMPUTE_PGM_RSRC2:TIDIG_COMP_CNT: 0
; COMPUTE_PGM_RSRC3_GFX90A:ACCUM_OFFSET: 12
; COMPUTE_PGM_RSRC3_GFX90A:TG_SPLIT: 0
	.section	.text._ZN7rocprim17ROCPRIM_304000_NS6detail31onesweep_scan_histograms_kernelINS1_34wrapped_radix_sort_onesweep_configINS0_14default_configEiN2at4cuda3cub6detail10OpaqueTypeILi1EEEEEmEEvPT0_,"axG",@progbits,_ZN7rocprim17ROCPRIM_304000_NS6detail31onesweep_scan_histograms_kernelINS1_34wrapped_radix_sort_onesweep_configINS0_14default_configEiN2at4cuda3cub6detail10OpaqueTypeILi1EEEEEmEEvPT0_,comdat
	.protected	_ZN7rocprim17ROCPRIM_304000_NS6detail31onesweep_scan_histograms_kernelINS1_34wrapped_radix_sort_onesweep_configINS0_14default_configEiN2at4cuda3cub6detail10OpaqueTypeILi1EEEEEmEEvPT0_ ; -- Begin function _ZN7rocprim17ROCPRIM_304000_NS6detail31onesweep_scan_histograms_kernelINS1_34wrapped_radix_sort_onesweep_configINS0_14default_configEiN2at4cuda3cub6detail10OpaqueTypeILi1EEEEEmEEvPT0_
	.globl	_ZN7rocprim17ROCPRIM_304000_NS6detail31onesweep_scan_histograms_kernelINS1_34wrapped_radix_sort_onesweep_configINS0_14default_configEiN2at4cuda3cub6detail10OpaqueTypeILi1EEEEEmEEvPT0_
	.p2align	8
	.type	_ZN7rocprim17ROCPRIM_304000_NS6detail31onesweep_scan_histograms_kernelINS1_34wrapped_radix_sort_onesweep_configINS0_14default_configEiN2at4cuda3cub6detail10OpaqueTypeILi1EEEEEmEEvPT0_,@function
_ZN7rocprim17ROCPRIM_304000_NS6detail31onesweep_scan_histograms_kernelINS1_34wrapped_radix_sort_onesweep_configINS0_14default_configEiN2at4cuda3cub6detail10OpaqueTypeILi1EEEEEmEEvPT0_: ; @_ZN7rocprim17ROCPRIM_304000_NS6detail31onesweep_scan_histograms_kernelINS1_34wrapped_radix_sort_onesweep_configINS0_14default_configEiN2at4cuda3cub6detail10OpaqueTypeILi1EEEEEmEEvPT0_
; %bb.0:
	s_load_dwordx2 s[0:1], s[0:1], 0x0
	s_lshl_b32 s2, s2, 8
	s_mov_b32 s3, 0
	s_lshl_b64 s[2:3], s[2:3], 3
	v_lshlrev_b32_e32 v8, 3, v0
	s_waitcnt lgkmcnt(0)
	s_add_u32 s14, s0, s2
	s_movk_i32 s0, 0x100
	s_addc_u32 s15, s1, s3
	v_cmp_gt_u32_e32 vcc, s0, v0
                                        ; implicit-def: $vgpr2_vgpr3
	s_and_saveexec_b64 s[0:1], vcc
	s_cbranch_execz .LBB11_2
; %bb.1:
	global_load_dwordx2 v[2:3], v8, s[14:15]
.LBB11_2:
	s_or_b64 exec, exec, s[0:1]
	v_mov_b32_e32 v4, 0
	v_mbcnt_lo_u32_b32 v1, -1, 0
	v_mbcnt_hi_u32_b32 v9, -1, v1
	s_waitcnt vmcnt(0)
	v_mov_b32_dpp v6, v2 row_shr:1 row_mask:0xf bank_mask:0xf
	v_mov_b32_e32 v7, v4
	v_and_b32_e32 v1, 15, v9
	v_mov_b32_dpp v5, v3 row_shr:1 row_mask:0xf bank_mask:0xf
	v_lshl_add_u64 v[6:7], v[2:3], 0, v[6:7]
	v_lshl_add_u64 v[4:5], v[4:5], 0, v[6:7]
	v_cmp_eq_u32_e64 s[4:5], 0, v1
	v_cmp_lt_u32_e64 s[6:7], 1, v1
	v_cmp_lt_u32_e64 s[2:3], 3, v1
	v_cndmask_b32_e64 v10, v6, v2, s[4:5]
	v_cndmask_b32_e64 v5, v5, v3, s[4:5]
	v_cndmask_b32_e64 v4, v4, v2, s[4:5]
	v_mov_b32_dpp v6, v10 row_shr:2 row_mask:0xf bank_mask:0xf
	v_mov_b32_dpp v7, v5 row_shr:2 row_mask:0xf bank_mask:0xf
	v_lshl_add_u64 v[6:7], v[6:7], 0, v[4:5]
	v_cndmask_b32_e64 v10, v10, v6, s[6:7]
	v_cndmask_b32_e64 v5, v5, v7, s[6:7]
	v_cndmask_b32_e64 v4, v4, v6, s[6:7]
	v_mov_b32_dpp v6, v10 row_shr:4 row_mask:0xf bank_mask:0xf
	v_mov_b32_dpp v7, v5 row_shr:4 row_mask:0xf bank_mask:0xf
	v_lshl_add_u64 v[6:7], v[6:7], 0, v[4:5]
	;; [unrolled: 6-line block ×3, first 2 shown]
	v_cmp_lt_u32_e64 s[8:9], 7, v1
	v_cmp_eq_u32_e64 s[0:1], 0, v9
	v_cmp_ne_u32_e64 s[12:13], 0, v9
	v_cndmask_b32_e64 v1, v10, v6, s[8:9]
	v_cndmask_b32_e64 v5, v5, v7, s[8:9]
	;; [unrolled: 1-line block ×3, first 2 shown]
	v_mov_b32_dpp v6, v1 row_bcast:15 row_mask:0xf bank_mask:0xf
	v_mov_b32_dpp v7, v5 row_bcast:15 row_mask:0xf bank_mask:0xf
	v_and_b32_e32 v10, 16, v9
	v_lshl_add_u64 v[6:7], v[6:7], 0, v[4:5]
	v_cmp_eq_u32_e64 s[10:11], 0, v10
	s_nop 1
	v_cndmask_b32_e64 v10, v7, v5, s[10:11]
	v_cndmask_b32_e64 v1, v6, v1, s[10:11]
	s_nop 0
	v_mov_b32_dpp v10, v10 row_bcast:31 row_mask:0xf bank_mask:0xf
	v_mov_b32_dpp v1, v1 row_bcast:31 row_mask:0xf bank_mask:0xf
	s_and_saveexec_b64 s[16:17], s[12:13]
; %bb.3:
	v_cndmask_b32_e64 v3, v7, v5, s[10:11]
	v_cndmask_b32_e64 v2, v6, v4, s[10:11]
	v_cmp_lt_u32_e64 s[10:11], 31, v9
	s_nop 1
	v_cndmask_b32_e64 v5, 0, v10, s[10:11]
	v_cndmask_b32_e64 v4, 0, v1, s[10:11]
	v_lshl_add_u64 v[2:3], v[4:5], 0, v[2:3]
; %bb.4:
	s_or_b64 exec, exec, s[16:17]
	v_and_b32_e32 v1, 63, v0
	v_lshrrev_b32_e32 v4, 6, v0
	v_cmp_eq_u32_e64 s[10:11], 63, v1
	s_and_saveexec_b64 s[12:13], s[10:11]
	s_cbranch_execz .LBB11_6
; %bb.5:
	v_lshlrev_b32_e32 v1, 3, v4
	ds_write_b64 v1, v[2:3]
.LBB11_6:
	s_or_b64 exec, exec, s[12:13]
	v_cmp_gt_u32_e64 s[10:11], 16, v0
	s_waitcnt lgkmcnt(0)
	s_barrier
	s_and_saveexec_b64 s[12:13], s[10:11]
	s_cbranch_execz .LBB11_8
; %bb.7:
	ds_read_b64 v[6:7], v8
	v_mov_b32_e32 v10, 0
	v_mov_b32_e32 v13, v10
	s_waitcnt lgkmcnt(0)
	v_mov_b32_dpp v12, v6 row_shr:1 row_mask:0xf bank_mask:0xf
	v_mov_b32_dpp v11, v7 row_shr:1 row_mask:0xf bank_mask:0xf
	v_lshl_add_u64 v[12:13], v[6:7], 0, v[12:13]
	v_lshl_add_u64 v[14:15], v[10:11], 0, v[12:13]
	v_cndmask_b32_e64 v1, v12, v6, s[4:5]
	v_cndmask_b32_e64 v15, v15, v7, s[4:5]
	;; [unrolled: 1-line block ×3, first 2 shown]
	v_mov_b32_dpp v6, v1 row_shr:2 row_mask:0xf bank_mask:0xf
	v_mov_b32_e32 v7, v10
	v_mov_b32_dpp v11, v15 row_shr:2 row_mask:0xf bank_mask:0xf
	v_lshl_add_u64 v[6:7], v[14:15], 0, v[6:7]
	v_lshl_add_u64 v[12:13], v[6:7], 0, v[10:11]
	v_cndmask_b32_e64 v1, v1, v6, s[6:7]
	v_cndmask_b32_e64 v7, v15, v13, s[6:7]
	;; [unrolled: 1-line block ×3, first 2 shown]
	v_mov_b32_dpp v12, v1 row_shr:4 row_mask:0xf bank_mask:0xf
	v_mov_b32_e32 v13, v10
	v_mov_b32_dpp v11, v7 row_shr:4 row_mask:0xf bank_mask:0xf
	v_lshl_add_u64 v[12:13], v[6:7], 0, v[12:13]
	v_lshl_add_u64 v[10:11], v[12:13], 0, v[10:11]
	v_cndmask_b32_e64 v7, v7, v11, s[2:3]
	v_cndmask_b32_e64 v1, v1, v12, s[2:3]
	;; [unrolled: 1-line block ×3, first 2 shown]
	v_mov_b32_dpp v5, v7 row_shr:8 row_mask:0xf bank_mask:0xf
	v_mov_b32_dpp v1, v1 row_shr:8 row_mask:0xf bank_mask:0xf
	v_cndmask_b32_e64 v10, 0, v1, s[8:9]
	v_cndmask_b32_e64 v11, 0, v5, s[8:9]
	v_lshl_add_u64 v[6:7], v[10:11], 0, v[6:7]
	ds_write_b64 v8, v[6:7]
.LBB11_8:
	s_or_b64 exec, exec, s[12:13]
	v_cmp_lt_u32_e64 s[2:3], 63, v0
	v_mov_b64_e32 v[0:1], 0
	s_waitcnt lgkmcnt(0)
	s_barrier
	s_and_saveexec_b64 s[4:5], s[2:3]
	s_cbranch_execz .LBB11_10
; %bb.9:
	v_lshl_add_u32 v0, v4, 3, -8
	ds_read_b64 v[0:1], v0
.LBB11_10:
	s_or_b64 exec, exec, s[4:5]
	v_add_u32_e32 v4, -1, v9
	v_and_b32_e32 v5, 64, v9
	v_cmp_lt_i32_e64 s[2:3], v4, v5
	s_waitcnt lgkmcnt(0)
	v_lshl_add_u64 v[2:3], v[0:1], 0, v[2:3]
	v_cndmask_b32_e64 v4, v4, v9, s[2:3]
	v_lshlrev_b32_e32 v4, 2, v4
	ds_bpermute_b32 v2, v4, v2
	ds_bpermute_b32 v3, v4, v3
	s_and_saveexec_b64 s[2:3], vcc
	s_cbranch_execz .LBB11_12
; %bb.11:
	s_waitcnt lgkmcnt(0)
	v_cndmask_b32_e64 v1, v3, v1, s[0:1]
	v_cndmask_b32_e64 v0, v2, v0, s[0:1]
	global_store_dwordx2 v8, v[0:1], s[14:15]
.LBB11_12:
	s_endpgm
	.section	.rodata,"a",@progbits
	.p2align	6, 0x0
	.amdhsa_kernel _ZN7rocprim17ROCPRIM_304000_NS6detail31onesweep_scan_histograms_kernelINS1_34wrapped_radix_sort_onesweep_configINS0_14default_configEiN2at4cuda3cub6detail10OpaqueTypeILi1EEEEEmEEvPT0_
		.amdhsa_group_segment_fixed_size 128
		.amdhsa_private_segment_fixed_size 0
		.amdhsa_kernarg_size 8
		.amdhsa_user_sgpr_count 2
		.amdhsa_user_sgpr_dispatch_ptr 0
		.amdhsa_user_sgpr_queue_ptr 0
		.amdhsa_user_sgpr_kernarg_segment_ptr 1
		.amdhsa_user_sgpr_dispatch_id 0
		.amdhsa_user_sgpr_kernarg_preload_length 0
		.amdhsa_user_sgpr_kernarg_preload_offset 0
		.amdhsa_user_sgpr_private_segment_size 0
		.amdhsa_uses_dynamic_stack 0
		.amdhsa_enable_private_segment 0
		.amdhsa_system_sgpr_workgroup_id_x 1
		.amdhsa_system_sgpr_workgroup_id_y 0
		.amdhsa_system_sgpr_workgroup_id_z 0
		.amdhsa_system_sgpr_workgroup_info 0
		.amdhsa_system_vgpr_workitem_id 0
		.amdhsa_next_free_vgpr 16
		.amdhsa_next_free_sgpr 18
		.amdhsa_accum_offset 16
		.amdhsa_reserve_vcc 1
		.amdhsa_float_round_mode_32 0
		.amdhsa_float_round_mode_16_64 0
		.amdhsa_float_denorm_mode_32 3
		.amdhsa_float_denorm_mode_16_64 3
		.amdhsa_dx10_clamp 1
		.amdhsa_ieee_mode 1
		.amdhsa_fp16_overflow 0
		.amdhsa_tg_split 0
		.amdhsa_exception_fp_ieee_invalid_op 0
		.amdhsa_exception_fp_denorm_src 0
		.amdhsa_exception_fp_ieee_div_zero 0
		.amdhsa_exception_fp_ieee_overflow 0
		.amdhsa_exception_fp_ieee_underflow 0
		.amdhsa_exception_fp_ieee_inexact 0
		.amdhsa_exception_int_div_zero 0
	.end_amdhsa_kernel
	.section	.text._ZN7rocprim17ROCPRIM_304000_NS6detail31onesweep_scan_histograms_kernelINS1_34wrapped_radix_sort_onesweep_configINS0_14default_configEiN2at4cuda3cub6detail10OpaqueTypeILi1EEEEEmEEvPT0_,"axG",@progbits,_ZN7rocprim17ROCPRIM_304000_NS6detail31onesweep_scan_histograms_kernelINS1_34wrapped_radix_sort_onesweep_configINS0_14default_configEiN2at4cuda3cub6detail10OpaqueTypeILi1EEEEEmEEvPT0_,comdat
.Lfunc_end11:
	.size	_ZN7rocprim17ROCPRIM_304000_NS6detail31onesweep_scan_histograms_kernelINS1_34wrapped_radix_sort_onesweep_configINS0_14default_configEiN2at4cuda3cub6detail10OpaqueTypeILi1EEEEEmEEvPT0_, .Lfunc_end11-_ZN7rocprim17ROCPRIM_304000_NS6detail31onesweep_scan_histograms_kernelINS1_34wrapped_radix_sort_onesweep_configINS0_14default_configEiN2at4cuda3cub6detail10OpaqueTypeILi1EEEEEmEEvPT0_
                                        ; -- End function
	.section	.AMDGPU.csdata,"",@progbits
; Kernel info:
; codeLenInByte = 936
; NumSgprs: 24
; NumVgprs: 16
; NumAgprs: 0
; TotalNumVgprs: 16
; ScratchSize: 0
; MemoryBound: 0
; FloatMode: 240
; IeeeMode: 1
; LDSByteSize: 128 bytes/workgroup (compile time only)
; SGPRBlocks: 2
; VGPRBlocks: 1
; NumSGPRsForWavesPerEU: 24
; NumVGPRsForWavesPerEU: 16
; AccumOffset: 16
; Occupancy: 8
; WaveLimiterHint : 0
; COMPUTE_PGM_RSRC2:SCRATCH_EN: 0
; COMPUTE_PGM_RSRC2:USER_SGPR: 2
; COMPUTE_PGM_RSRC2:TRAP_HANDLER: 0
; COMPUTE_PGM_RSRC2:TGID_X_EN: 1
; COMPUTE_PGM_RSRC2:TGID_Y_EN: 0
; COMPUTE_PGM_RSRC2:TGID_Z_EN: 0
; COMPUTE_PGM_RSRC2:TIDIG_COMP_CNT: 0
; COMPUTE_PGM_RSRC3_GFX90A:ACCUM_OFFSET: 3
; COMPUTE_PGM_RSRC3_GFX90A:TG_SPLIT: 0
	.section	.text._ZN7rocprim17ROCPRIM_304000_NS6detail16transform_kernelINS1_24wrapped_transform_configINS0_14default_configEiEEiPKiPiNS0_8identityIiEEEEvT1_mT2_T3_,"axG",@progbits,_ZN7rocprim17ROCPRIM_304000_NS6detail16transform_kernelINS1_24wrapped_transform_configINS0_14default_configEiEEiPKiPiNS0_8identityIiEEEEvT1_mT2_T3_,comdat
	.protected	_ZN7rocprim17ROCPRIM_304000_NS6detail16transform_kernelINS1_24wrapped_transform_configINS0_14default_configEiEEiPKiPiNS0_8identityIiEEEEvT1_mT2_T3_ ; -- Begin function _ZN7rocprim17ROCPRIM_304000_NS6detail16transform_kernelINS1_24wrapped_transform_configINS0_14default_configEiEEiPKiPiNS0_8identityIiEEEEvT1_mT2_T3_
	.globl	_ZN7rocprim17ROCPRIM_304000_NS6detail16transform_kernelINS1_24wrapped_transform_configINS0_14default_configEiEEiPKiPiNS0_8identityIiEEEEvT1_mT2_T3_
	.p2align	8
	.type	_ZN7rocprim17ROCPRIM_304000_NS6detail16transform_kernelINS1_24wrapped_transform_configINS0_14default_configEiEEiPKiPiNS0_8identityIiEEEEvT1_mT2_T3_,@function
_ZN7rocprim17ROCPRIM_304000_NS6detail16transform_kernelINS1_24wrapped_transform_configINS0_14default_configEiEEiPKiPiNS0_8identityIiEEEEvT1_mT2_T3_: ; @_ZN7rocprim17ROCPRIM_304000_NS6detail16transform_kernelINS1_24wrapped_transform_configINS0_14default_configEiEEiPKiPiNS0_8identityIiEEEEvT1_mT2_T3_
; %bb.0:
	s_load_dword s3, s[0:1], 0x20
	s_load_dwordx4 s[4:7], s[0:1], 0x0
	s_load_dwordx2 s[8:9], s[0:1], 0x10
	s_lshl_b32 s0, s2, 10
	s_mov_b32 s1, 0
	s_waitcnt lgkmcnt(0)
	s_add_i32 s3, s3, -1
	s_lshl_b64 s[10:11], s[0:1], 2
	s_add_u32 s4, s4, s10
	s_addc_u32 s5, s5, s11
	v_mov_b32_e32 v7, 0
	v_lshlrev_b32_e32 v6, 2, v0
	s_cmp_lg_u32 s2, s3
	v_lshl_add_u64 v[8:9], s[4:5], 0, v[6:7]
	s_cbranch_scc0 .LBB12_2
; %bb.1:
	global_load_dword v2, v[8:9], off
	global_load_dword v3, v[8:9], off offset:1024
	global_load_dword v4, v[8:9], off offset:2048
	;; [unrolled: 1-line block ×3, first 2 shown]
	s_add_u32 s4, s8, s10
	s_addc_u32 s5, s9, s11
	s_mov_b64 s[12:13], -1
	s_waitcnt vmcnt(3)
	global_store_dword v6, v2, s[4:5]
	s_waitcnt vmcnt(3)
	global_store_dword v6, v3, s[4:5] offset:1024
	s_waitcnt vmcnt(3)
	global_store_dword v6, v4, s[4:5] offset:2048
	s_cbranch_execz .LBB12_3
	s_branch .LBB12_17
.LBB12_2:
	s_mov_b64 s[12:13], 0
                                        ; implicit-def: $vgpr1
.LBB12_3:
	s_sub_i32 s6, s6, s0
	v_cmp_gt_u32_e32 vcc, s6, v0
                                        ; implicit-def: $vgpr2_vgpr3_vgpr4_vgpr5
	s_and_saveexec_b64 s[0:1], vcc
	s_cbranch_execz .LBB12_5
; %bb.4:
	global_load_dword v2, v[8:9], off
.LBB12_5:
	s_or_b64 exec, exec, s[0:1]
	s_waitcnt vmcnt(3)
	v_or_b32_e32 v1, 0x100, v0
	v_cmp_gt_u32_e64 s[0:1], s6, v1
	s_and_saveexec_b64 s[2:3], s[0:1]
	s_cbranch_execz .LBB12_7
; %bb.6:
	global_load_dword v3, v[8:9], off offset:1024
.LBB12_7:
	s_or_b64 exec, exec, s[2:3]
	v_or_b32_e32 v1, 0x200, v0
	v_cmp_gt_u32_e64 s[2:3], s6, v1
	s_and_saveexec_b64 s[4:5], s[2:3]
	s_cbranch_execz .LBB12_9
; %bb.8:
	global_load_dword v4, v[8:9], off offset:2048
.LBB12_9:
	s_or_b64 exec, exec, s[4:5]
	;; [unrolled: 8-line block ×3, first 2 shown]
	s_add_u32 s6, s8, s10
	s_addc_u32 s7, s9, s11
	v_mov_b32_e32 v7, 0
	v_lshl_add_u64 v[0:1], s[6:7], 0, v[6:7]
	s_and_saveexec_b64 s[6:7], vcc
	s_cbranch_execnz .LBB12_20
; %bb.12:
	s_or_b64 exec, exec, s[6:7]
	s_and_saveexec_b64 s[6:7], s[0:1]
	s_cbranch_execnz .LBB12_21
.LBB12_13:
	s_or_b64 exec, exec, s[6:7]
	s_and_saveexec_b64 s[0:1], s[2:3]
	s_cbranch_execnz .LBB12_22
.LBB12_14:
	s_or_b64 exec, exec, s[0:1]
                                        ; implicit-def: $vgpr1
	s_and_saveexec_b64 s[0:1], s[4:5]
	s_cbranch_execz .LBB12_16
.LBB12_15:
	s_waitcnt vmcnt(0)
	v_cndmask_b32_e64 v1, v5, v5, s[4:5]
	s_or_b64 s[12:13], s[12:13], exec
.LBB12_16:
	s_or_b64 exec, exec, s[0:1]
.LBB12_17:
	s_and_saveexec_b64 s[0:1], s[12:13]
	s_cbranch_execnz .LBB12_19
; %bb.18:
	s_endpgm
.LBB12_19:
	s_add_u32 s0, s8, s10
	s_addc_u32 s1, s9, s11
	s_waitcnt vmcnt(3)
	global_store_dword v6, v1, s[0:1] offset:3072
	s_endpgm
.LBB12_20:
	s_waitcnt vmcnt(0)
	global_store_dword v[0:1], v2, off
	s_or_b64 exec, exec, s[6:7]
	s_and_saveexec_b64 s[6:7], s[0:1]
	s_cbranch_execz .LBB12_13
.LBB12_21:
	s_waitcnt vmcnt(0)
	global_store_dword v[0:1], v3, off offset:1024
	s_or_b64 exec, exec, s[6:7]
	s_and_saveexec_b64 s[0:1], s[2:3]
	s_cbranch_execz .LBB12_14
.LBB12_22:
	s_waitcnt vmcnt(0)
	v_cndmask_b32_e64 v2, v4, v4, s[2:3]
	global_store_dword v[0:1], v2, off offset:2048
	s_or_b64 exec, exec, s[0:1]
                                        ; implicit-def: $vgpr1
	s_and_saveexec_b64 s[0:1], s[4:5]
	s_cbranch_execnz .LBB12_15
	s_branch .LBB12_16
	.section	.rodata,"a",@progbits
	.p2align	6, 0x0
	.amdhsa_kernel _ZN7rocprim17ROCPRIM_304000_NS6detail16transform_kernelINS1_24wrapped_transform_configINS0_14default_configEiEEiPKiPiNS0_8identityIiEEEEvT1_mT2_T3_
		.amdhsa_group_segment_fixed_size 0
		.amdhsa_private_segment_fixed_size 0
		.amdhsa_kernarg_size 288
		.amdhsa_user_sgpr_count 2
		.amdhsa_user_sgpr_dispatch_ptr 0
		.amdhsa_user_sgpr_queue_ptr 0
		.amdhsa_user_sgpr_kernarg_segment_ptr 1
		.amdhsa_user_sgpr_dispatch_id 0
		.amdhsa_user_sgpr_kernarg_preload_length 0
		.amdhsa_user_sgpr_kernarg_preload_offset 0
		.amdhsa_user_sgpr_private_segment_size 0
		.amdhsa_uses_dynamic_stack 0
		.amdhsa_enable_private_segment 0
		.amdhsa_system_sgpr_workgroup_id_x 1
		.amdhsa_system_sgpr_workgroup_id_y 0
		.amdhsa_system_sgpr_workgroup_id_z 0
		.amdhsa_system_sgpr_workgroup_info 0
		.amdhsa_system_vgpr_workitem_id 0
		.amdhsa_next_free_vgpr 10
		.amdhsa_next_free_sgpr 14
		.amdhsa_accum_offset 12
		.amdhsa_reserve_vcc 1
		.amdhsa_float_round_mode_32 0
		.amdhsa_float_round_mode_16_64 0
		.amdhsa_float_denorm_mode_32 3
		.amdhsa_float_denorm_mode_16_64 3
		.amdhsa_dx10_clamp 1
		.amdhsa_ieee_mode 1
		.amdhsa_fp16_overflow 0
		.amdhsa_tg_split 0
		.amdhsa_exception_fp_ieee_invalid_op 0
		.amdhsa_exception_fp_denorm_src 0
		.amdhsa_exception_fp_ieee_div_zero 0
		.amdhsa_exception_fp_ieee_overflow 0
		.amdhsa_exception_fp_ieee_underflow 0
		.amdhsa_exception_fp_ieee_inexact 0
		.amdhsa_exception_int_div_zero 0
	.end_amdhsa_kernel
	.section	.text._ZN7rocprim17ROCPRIM_304000_NS6detail16transform_kernelINS1_24wrapped_transform_configINS0_14default_configEiEEiPKiPiNS0_8identityIiEEEEvT1_mT2_T3_,"axG",@progbits,_ZN7rocprim17ROCPRIM_304000_NS6detail16transform_kernelINS1_24wrapped_transform_configINS0_14default_configEiEEiPKiPiNS0_8identityIiEEEEvT1_mT2_T3_,comdat
.Lfunc_end12:
	.size	_ZN7rocprim17ROCPRIM_304000_NS6detail16transform_kernelINS1_24wrapped_transform_configINS0_14default_configEiEEiPKiPiNS0_8identityIiEEEEvT1_mT2_T3_, .Lfunc_end12-_ZN7rocprim17ROCPRIM_304000_NS6detail16transform_kernelINS1_24wrapped_transform_configINS0_14default_configEiEEiPKiPiNS0_8identityIiEEEEvT1_mT2_T3_
                                        ; -- End function
	.section	.AMDGPU.csdata,"",@progbits
; Kernel info:
; codeLenInByte = 512
; NumSgprs: 20
; NumVgprs: 10
; NumAgprs: 0
; TotalNumVgprs: 10
; ScratchSize: 0
; MemoryBound: 0
; FloatMode: 240
; IeeeMode: 1
; LDSByteSize: 0 bytes/workgroup (compile time only)
; SGPRBlocks: 2
; VGPRBlocks: 1
; NumSGPRsForWavesPerEU: 20
; NumVGPRsForWavesPerEU: 10
; AccumOffset: 12
; Occupancy: 8
; WaveLimiterHint : 1
; COMPUTE_PGM_RSRC2:SCRATCH_EN: 0
; COMPUTE_PGM_RSRC2:USER_SGPR: 2
; COMPUTE_PGM_RSRC2:TRAP_HANDLER: 0
; COMPUTE_PGM_RSRC2:TGID_X_EN: 1
; COMPUTE_PGM_RSRC2:TGID_Y_EN: 0
; COMPUTE_PGM_RSRC2:TGID_Z_EN: 0
; COMPUTE_PGM_RSRC2:TIDIG_COMP_CNT: 0
; COMPUTE_PGM_RSRC3_GFX90A:ACCUM_OFFSET: 2
; COMPUTE_PGM_RSRC3_GFX90A:TG_SPLIT: 0
	.section	.text._ZN7rocprim17ROCPRIM_304000_NS6detail16transform_kernelINS1_24wrapped_transform_configINS0_14default_configEN2at4cuda3cub6detail10OpaqueTypeILi1EEEEESA_PKSA_PSA_NS0_8identityISA_EEEEvT1_mT2_T3_,"axG",@progbits,_ZN7rocprim17ROCPRIM_304000_NS6detail16transform_kernelINS1_24wrapped_transform_configINS0_14default_configEN2at4cuda3cub6detail10OpaqueTypeILi1EEEEESA_PKSA_PSA_NS0_8identityISA_EEEEvT1_mT2_T3_,comdat
	.protected	_ZN7rocprim17ROCPRIM_304000_NS6detail16transform_kernelINS1_24wrapped_transform_configINS0_14default_configEN2at4cuda3cub6detail10OpaqueTypeILi1EEEEESA_PKSA_PSA_NS0_8identityISA_EEEEvT1_mT2_T3_ ; -- Begin function _ZN7rocprim17ROCPRIM_304000_NS6detail16transform_kernelINS1_24wrapped_transform_configINS0_14default_configEN2at4cuda3cub6detail10OpaqueTypeILi1EEEEESA_PKSA_PSA_NS0_8identityISA_EEEEvT1_mT2_T3_
	.globl	_ZN7rocprim17ROCPRIM_304000_NS6detail16transform_kernelINS1_24wrapped_transform_configINS0_14default_configEN2at4cuda3cub6detail10OpaqueTypeILi1EEEEESA_PKSA_PSA_NS0_8identityISA_EEEEvT1_mT2_T3_
	.p2align	8
	.type	_ZN7rocprim17ROCPRIM_304000_NS6detail16transform_kernelINS1_24wrapped_transform_configINS0_14default_configEN2at4cuda3cub6detail10OpaqueTypeILi1EEEEESA_PKSA_PSA_NS0_8identityISA_EEEEvT1_mT2_T3_,@function
_ZN7rocprim17ROCPRIM_304000_NS6detail16transform_kernelINS1_24wrapped_transform_configINS0_14default_configEN2at4cuda3cub6detail10OpaqueTypeILi1EEEEESA_PKSA_PSA_NS0_8identityISA_EEEEvT1_mT2_T3_: ; @_ZN7rocprim17ROCPRIM_304000_NS6detail16transform_kernelINS1_24wrapped_transform_configINS0_14default_configEN2at4cuda3cub6detail10OpaqueTypeILi1EEEEESA_PKSA_PSA_NS0_8identityISA_EEEEvT1_mT2_T3_
; %bb.0:
	s_load_dword s3, s[0:1], 0x20
	s_load_dwordx4 s[4:7], s[0:1], 0x0
	s_load_dwordx2 s[28:29], s[0:1], 0x10
	s_lshl_b32 s33, s2, 12
	v_mov_b32_e32 v1, 0
	s_waitcnt lgkmcnt(0)
	s_add_i32 s3, s3, -1
	s_add_u32 s0, s4, s33
	s_addc_u32 s1, s5, 0
	s_cmp_lg_u32 s2, s3
	v_lshl_add_u64 v[2:3], s[0:1], 0, v[0:1]
	s_cbranch_scc0 .LBB13_2
; %bb.1:
	global_load_ubyte v7, v[2:3], off
	global_load_ubyte v8, v[2:3], off offset:256
	global_load_ubyte v9, v[2:3], off offset:512
	;; [unrolled: 1-line block ×15, first 2 shown]
	s_add_u32 s2, s28, s33
	s_addc_u32 s3, s29, 0
	v_lshl_add_u64 v[4:5], s[2:3], 0, v[0:1]
	s_mov_b64 s[30:31], -1
	s_waitcnt vmcnt(15)
	global_store_byte v[4:5], v7, off
	s_waitcnt vmcnt(15)
	global_store_byte v[4:5], v8, off offset:256
	s_waitcnt vmcnt(15)
	global_store_byte v[4:5], v9, off offset:512
	;; [unrolled: 2-line block ×14, first 2 shown]
	s_cbranch_execz .LBB13_3
	s_branch .LBB13_52
.LBB13_2:
	s_mov_b64 s[30:31], 0
                                        ; implicit-def: $vgpr6
.LBB13_3:
	s_sub_i32 s34, s6, s33
	v_cmp_gt_u32_e32 vcc, s34, v0
                                        ; implicit-def: $vgpr4
	s_and_saveexec_b64 s[0:1], vcc
	s_cbranch_execz .LBB13_5
; %bb.4:
	global_load_ubyte v4, v[2:3], off
.LBB13_5:
	s_or_b64 exec, exec, s[0:1]
	v_or_b32_e32 v5, 0x100, v0
	v_cmp_gt_u32_e64 s[0:1], s34, v5
                                        ; implicit-def: $vgpr5
	s_and_saveexec_b64 s[2:3], s[0:1]
	s_cbranch_execz .LBB13_7
; %bb.6:
	global_load_ubyte v5, v[2:3], off offset:256
.LBB13_7:
	s_or_b64 exec, exec, s[2:3]
	s_waitcnt vmcnt(15)
	v_or_b32_e32 v6, 0x200, v0
	v_cmp_gt_u32_e64 s[2:3], s34, v6
                                        ; implicit-def: $vgpr7
	s_and_saveexec_b64 s[4:5], s[2:3]
	s_cbranch_execz .LBB13_9
; %bb.8:
	global_load_ubyte v7, v[2:3], off offset:512
.LBB13_9:
	s_or_b64 exec, exec, s[4:5]
	v_or_b32_e32 v6, 0x300, v0
	v_cmp_gt_u32_e64 s[4:5], s34, v6
                                        ; implicit-def: $vgpr8
	s_and_saveexec_b64 s[6:7], s[4:5]
	s_cbranch_execz .LBB13_11
; %bb.10:
	global_load_ubyte v8, v[2:3], off offset:768
.LBB13_11:
	s_or_b64 exec, exec, s[6:7]
	v_or_b32_e32 v6, 0x400, v0
	v_cmp_gt_u32_e64 s[6:7], s34, v6
                                        ; implicit-def: $vgpr9
	s_and_saveexec_b64 s[8:9], s[6:7]
	s_cbranch_execz .LBB13_13
; %bb.12:
	global_load_ubyte v9, v[2:3], off offset:1024
.LBB13_13:
	s_or_b64 exec, exec, s[8:9]
	v_or_b32_e32 v6, 0x500, v0
	v_cmp_gt_u32_e64 s[8:9], s34, v6
                                        ; implicit-def: $vgpr10
	s_and_saveexec_b64 s[10:11], s[8:9]
	s_cbranch_execz .LBB13_15
; %bb.14:
	global_load_ubyte v10, v[2:3], off offset:1280
.LBB13_15:
	s_or_b64 exec, exec, s[10:11]
	v_or_b32_e32 v6, 0x600, v0
	v_cmp_gt_u32_e64 s[10:11], s34, v6
                                        ; implicit-def: $vgpr11
	s_and_saveexec_b64 s[12:13], s[10:11]
	s_cbranch_execz .LBB13_17
; %bb.16:
	global_load_ubyte v11, v[2:3], off offset:1536
.LBB13_17:
	s_or_b64 exec, exec, s[12:13]
	v_or_b32_e32 v6, 0x700, v0
	v_cmp_gt_u32_e64 s[12:13], s34, v6
                                        ; implicit-def: $vgpr12
	s_and_saveexec_b64 s[14:15], s[12:13]
	s_cbranch_execz .LBB13_19
; %bb.18:
	global_load_ubyte v12, v[2:3], off offset:1792
.LBB13_19:
	s_or_b64 exec, exec, s[14:15]
	v_or_b32_e32 v6, 0x800, v0
	v_cmp_gt_u32_e64 s[14:15], s34, v6
                                        ; implicit-def: $vgpr13
	s_and_saveexec_b64 s[16:17], s[14:15]
	s_cbranch_execz .LBB13_21
; %bb.20:
	global_load_ubyte v13, v[2:3], off offset:2048
.LBB13_21:
	s_or_b64 exec, exec, s[16:17]
	v_or_b32_e32 v6, 0x900, v0
	v_cmp_gt_u32_e64 s[16:17], s34, v6
                                        ; implicit-def: $vgpr14
	s_and_saveexec_b64 s[18:19], s[16:17]
	s_cbranch_execz .LBB13_23
; %bb.22:
	global_load_ubyte v14, v[2:3], off offset:2304
.LBB13_23:
	s_or_b64 exec, exec, s[18:19]
	v_or_b32_e32 v6, 0xa00, v0
	v_cmp_gt_u32_e64 s[18:19], s34, v6
                                        ; implicit-def: $vgpr15
	s_and_saveexec_b64 s[20:21], s[18:19]
	s_cbranch_execz .LBB13_25
; %bb.24:
	global_load_ubyte v15, v[2:3], off offset:2560
.LBB13_25:
	s_or_b64 exec, exec, s[20:21]
	v_or_b32_e32 v6, 0xb00, v0
	v_cmp_gt_u32_e64 s[20:21], s34, v6
                                        ; implicit-def: $vgpr16
	s_and_saveexec_b64 s[22:23], s[20:21]
	s_cbranch_execz .LBB13_27
; %bb.26:
	global_load_ubyte v16, v[2:3], off offset:2816
.LBB13_27:
	s_or_b64 exec, exec, s[22:23]
	v_or_b32_e32 v6, 0xc00, v0
	v_cmp_gt_u32_e64 s[22:23], s34, v6
                                        ; implicit-def: $vgpr17
	s_and_saveexec_b64 s[24:25], s[22:23]
	s_cbranch_execz .LBB13_29
; %bb.28:
	global_load_ubyte v17, v[2:3], off offset:3072
.LBB13_29:
	s_or_b64 exec, exec, s[24:25]
	v_or_b32_e32 v6, 0xd00, v0
	v_cmp_gt_u32_e64 s[24:25], s34, v6
                                        ; implicit-def: $vgpr18
	s_and_saveexec_b64 s[26:27], s[24:25]
	s_cbranch_execz .LBB13_31
; %bb.30:
	global_load_ubyte v18, v[2:3], off offset:3328
.LBB13_31:
	s_or_b64 exec, exec, s[26:27]
	v_or_b32_e32 v6, 0xe00, v0
	v_cmp_gt_u32_e64 s[26:27], s34, v6
                                        ; implicit-def: $vgpr19
	s_and_saveexec_b64 s[30:31], s[26:27]
	s_cbranch_execz .LBB13_33
; %bb.32:
	global_load_ubyte v19, v[2:3], off offset:3584
.LBB13_33:
	s_or_b64 exec, exec, s[30:31]
	v_or_b32_e32 v6, 0xf00, v0
	v_cmp_gt_u32_e64 s[30:31], s34, v6
                                        ; implicit-def: $vgpr6
	s_and_saveexec_b64 s[34:35], s[30:31]
	s_cbranch_execz .LBB13_35
; %bb.34:
	global_load_ubyte v6, v[2:3], off offset:3840
.LBB13_35:
	s_or_b64 exec, exec, s[34:35]
	s_add_u32 s34, s28, s33
	s_addc_u32 s35, s29, 0
	v_lshl_add_u64 v[2:3], s[34:35], 0, v[0:1]
	s_and_saveexec_b64 s[34:35], vcc
	s_xor_b64 s[34:35], exec, s[34:35]
	s_cbranch_execnz .LBB13_55
; %bb.36:
	s_or_b64 exec, exec, s[34:35]
	s_and_saveexec_b64 s[34:35], s[0:1]
	s_cbranch_execnz .LBB13_56
.LBB13_37:
	s_or_b64 exec, exec, s[34:35]
	s_and_saveexec_b64 s[0:1], s[2:3]
	s_cbranch_execnz .LBB13_57
.LBB13_38:
	s_or_b64 exec, exec, s[0:1]
	s_and_saveexec_b64 s[0:1], s[4:5]
	s_cbranch_execnz .LBB13_58
.LBB13_39:
	s_or_b64 exec, exec, s[0:1]
	s_and_saveexec_b64 s[0:1], s[6:7]
	s_cbranch_execnz .LBB13_59
.LBB13_40:
	s_or_b64 exec, exec, s[0:1]
	s_and_saveexec_b64 s[0:1], s[8:9]
	s_cbranch_execnz .LBB13_60
.LBB13_41:
	s_or_b64 exec, exec, s[0:1]
	s_and_saveexec_b64 s[0:1], s[10:11]
	s_cbranch_execnz .LBB13_61
.LBB13_42:
	s_or_b64 exec, exec, s[0:1]
	s_and_saveexec_b64 s[0:1], s[12:13]
	s_cbranch_execnz .LBB13_62
.LBB13_43:
	s_or_b64 exec, exec, s[0:1]
	s_and_saveexec_b64 s[0:1], s[14:15]
	s_cbranch_execnz .LBB13_63
.LBB13_44:
	s_or_b64 exec, exec, s[0:1]
	s_and_saveexec_b64 s[0:1], s[16:17]
	s_cbranch_execnz .LBB13_64
.LBB13_45:
	s_or_b64 exec, exec, s[0:1]
	s_and_saveexec_b64 s[0:1], s[18:19]
	s_cbranch_execnz .LBB13_65
.LBB13_46:
	s_or_b64 exec, exec, s[0:1]
	s_and_saveexec_b64 s[0:1], s[20:21]
	s_cbranch_execnz .LBB13_66
.LBB13_47:
	s_or_b64 exec, exec, s[0:1]
	s_and_saveexec_b64 s[0:1], s[22:23]
	s_cbranch_execnz .LBB13_67
.LBB13_48:
	s_or_b64 exec, exec, s[0:1]
	s_and_saveexec_b64 s[0:1], s[24:25]
	s_cbranch_execnz .LBB13_68
.LBB13_49:
	s_or_b64 exec, exec, s[0:1]
	s_and_saveexec_b64 s[0:1], s[26:27]
	s_cbranch_execz .LBB13_51
.LBB13_50:
	s_waitcnt vmcnt(0)
	global_store_byte v[2:3], v19, off offset:3584
.LBB13_51:
	s_or_b64 exec, exec, s[0:1]
.LBB13_52:
	s_and_saveexec_b64 s[0:1], s[30:31]
	s_cbranch_execnz .LBB13_54
; %bb.53:
	s_endpgm
.LBB13_54:
	s_add_u32 s0, s28, s33
	s_addc_u32 s1, s29, 0
	v_lshl_add_u64 v[0:1], s[0:1], 0, v[0:1]
	s_waitcnt vmcnt(0)
	global_store_byte v[0:1], v6, off offset:3840
	s_endpgm
.LBB13_55:
	s_waitcnt vmcnt(0)
	global_store_byte v[2:3], v4, off
	s_or_b64 exec, exec, s[34:35]
	s_and_saveexec_b64 s[34:35], s[0:1]
	s_cbranch_execz .LBB13_37
.LBB13_56:
	s_waitcnt vmcnt(0)
	global_store_byte v[2:3], v5, off offset:256
	s_or_b64 exec, exec, s[34:35]
	s_and_saveexec_b64 s[0:1], s[2:3]
	s_cbranch_execz .LBB13_38
.LBB13_57:
	s_waitcnt vmcnt(0)
	global_store_byte v[2:3], v7, off offset:512
	s_or_b64 exec, exec, s[0:1]
	s_and_saveexec_b64 s[0:1], s[4:5]
	s_cbranch_execz .LBB13_39
.LBB13_58:
	s_waitcnt vmcnt(0)
	global_store_byte v[2:3], v8, off offset:768
	s_or_b64 exec, exec, s[0:1]
	s_and_saveexec_b64 s[0:1], s[6:7]
	s_cbranch_execz .LBB13_40
.LBB13_59:
	s_waitcnt vmcnt(0)
	global_store_byte v[2:3], v9, off offset:1024
	s_or_b64 exec, exec, s[0:1]
	s_and_saveexec_b64 s[0:1], s[8:9]
	s_cbranch_execz .LBB13_41
.LBB13_60:
	s_waitcnt vmcnt(0)
	global_store_byte v[2:3], v10, off offset:1280
	s_or_b64 exec, exec, s[0:1]
	s_and_saveexec_b64 s[0:1], s[10:11]
	s_cbranch_execz .LBB13_42
.LBB13_61:
	s_waitcnt vmcnt(0)
	global_store_byte v[2:3], v11, off offset:1536
	s_or_b64 exec, exec, s[0:1]
	s_and_saveexec_b64 s[0:1], s[12:13]
	s_cbranch_execz .LBB13_43
.LBB13_62:
	s_waitcnt vmcnt(0)
	global_store_byte v[2:3], v12, off offset:1792
	s_or_b64 exec, exec, s[0:1]
	s_and_saveexec_b64 s[0:1], s[14:15]
	s_cbranch_execz .LBB13_44
.LBB13_63:
	s_waitcnt vmcnt(0)
	global_store_byte v[2:3], v13, off offset:2048
	s_or_b64 exec, exec, s[0:1]
	s_and_saveexec_b64 s[0:1], s[16:17]
	s_cbranch_execz .LBB13_45
.LBB13_64:
	s_waitcnt vmcnt(0)
	global_store_byte v[2:3], v14, off offset:2304
	s_or_b64 exec, exec, s[0:1]
	s_and_saveexec_b64 s[0:1], s[18:19]
	s_cbranch_execz .LBB13_46
.LBB13_65:
	s_waitcnt vmcnt(0)
	global_store_byte v[2:3], v15, off offset:2560
	s_or_b64 exec, exec, s[0:1]
	s_and_saveexec_b64 s[0:1], s[20:21]
	s_cbranch_execz .LBB13_47
.LBB13_66:
	s_waitcnt vmcnt(0)
	global_store_byte v[2:3], v16, off offset:2816
	s_or_b64 exec, exec, s[0:1]
	s_and_saveexec_b64 s[0:1], s[22:23]
	s_cbranch_execz .LBB13_48
.LBB13_67:
	s_waitcnt vmcnt(0)
	global_store_byte v[2:3], v17, off offset:3072
	s_or_b64 exec, exec, s[0:1]
	s_and_saveexec_b64 s[0:1], s[24:25]
	s_cbranch_execz .LBB13_49
.LBB13_68:
	s_waitcnt vmcnt(0)
	global_store_byte v[2:3], v18, off offset:3328
	s_or_b64 exec, exec, s[0:1]
	s_and_saveexec_b64 s[0:1], s[26:27]
	s_cbranch_execnz .LBB13_50
	s_branch .LBB13_51
	.section	.rodata,"a",@progbits
	.p2align	6, 0x0
	.amdhsa_kernel _ZN7rocprim17ROCPRIM_304000_NS6detail16transform_kernelINS1_24wrapped_transform_configINS0_14default_configEN2at4cuda3cub6detail10OpaqueTypeILi1EEEEESA_PKSA_PSA_NS0_8identityISA_EEEEvT1_mT2_T3_
		.amdhsa_group_segment_fixed_size 0
		.amdhsa_private_segment_fixed_size 0
		.amdhsa_kernarg_size 288
		.amdhsa_user_sgpr_count 2
		.amdhsa_user_sgpr_dispatch_ptr 0
		.amdhsa_user_sgpr_queue_ptr 0
		.amdhsa_user_sgpr_kernarg_segment_ptr 1
		.amdhsa_user_sgpr_dispatch_id 0
		.amdhsa_user_sgpr_kernarg_preload_length 0
		.amdhsa_user_sgpr_kernarg_preload_offset 0
		.amdhsa_user_sgpr_private_segment_size 0
		.amdhsa_uses_dynamic_stack 0
		.amdhsa_enable_private_segment 0
		.amdhsa_system_sgpr_workgroup_id_x 1
		.amdhsa_system_sgpr_workgroup_id_y 0
		.amdhsa_system_sgpr_workgroup_id_z 0
		.amdhsa_system_sgpr_workgroup_info 0
		.amdhsa_system_vgpr_workitem_id 0
		.amdhsa_next_free_vgpr 22
		.amdhsa_next_free_sgpr 36
		.amdhsa_accum_offset 24
		.amdhsa_reserve_vcc 1
		.amdhsa_float_round_mode_32 0
		.amdhsa_float_round_mode_16_64 0
		.amdhsa_float_denorm_mode_32 3
		.amdhsa_float_denorm_mode_16_64 3
		.amdhsa_dx10_clamp 1
		.amdhsa_ieee_mode 1
		.amdhsa_fp16_overflow 0
		.amdhsa_tg_split 0
		.amdhsa_exception_fp_ieee_invalid_op 0
		.amdhsa_exception_fp_denorm_src 0
		.amdhsa_exception_fp_ieee_div_zero 0
		.amdhsa_exception_fp_ieee_overflow 0
		.amdhsa_exception_fp_ieee_underflow 0
		.amdhsa_exception_fp_ieee_inexact 0
		.amdhsa_exception_int_div_zero 0
	.end_amdhsa_kernel
	.section	.text._ZN7rocprim17ROCPRIM_304000_NS6detail16transform_kernelINS1_24wrapped_transform_configINS0_14default_configEN2at4cuda3cub6detail10OpaqueTypeILi1EEEEESA_PKSA_PSA_NS0_8identityISA_EEEEvT1_mT2_T3_,"axG",@progbits,_ZN7rocprim17ROCPRIM_304000_NS6detail16transform_kernelINS1_24wrapped_transform_configINS0_14default_configEN2at4cuda3cub6detail10OpaqueTypeILi1EEEEESA_PKSA_PSA_NS0_8identityISA_EEEEvT1_mT2_T3_,comdat
.Lfunc_end13:
	.size	_ZN7rocprim17ROCPRIM_304000_NS6detail16transform_kernelINS1_24wrapped_transform_configINS0_14default_configEN2at4cuda3cub6detail10OpaqueTypeILi1EEEEESA_PKSA_PSA_NS0_8identityISA_EEEEvT1_mT2_T3_, .Lfunc_end13-_ZN7rocprim17ROCPRIM_304000_NS6detail16transform_kernelINS1_24wrapped_transform_configINS0_14default_configEN2at4cuda3cub6detail10OpaqueTypeILi1EEEEESA_PKSA_PSA_NS0_8identityISA_EEEEvT1_mT2_T3_
                                        ; -- End function
	.section	.AMDGPU.csdata,"",@progbits
; Kernel info:
; codeLenInByte = 1572
; NumSgprs: 42
; NumVgprs: 22
; NumAgprs: 0
; TotalNumVgprs: 22
; ScratchSize: 0
; MemoryBound: 0
; FloatMode: 240
; IeeeMode: 1
; LDSByteSize: 0 bytes/workgroup (compile time only)
; SGPRBlocks: 5
; VGPRBlocks: 2
; NumSGPRsForWavesPerEU: 42
; NumVGPRsForWavesPerEU: 22
; AccumOffset: 24
; Occupancy: 8
; WaveLimiterHint : 1
; COMPUTE_PGM_RSRC2:SCRATCH_EN: 0
; COMPUTE_PGM_RSRC2:USER_SGPR: 2
; COMPUTE_PGM_RSRC2:TRAP_HANDLER: 0
; COMPUTE_PGM_RSRC2:TGID_X_EN: 1
; COMPUTE_PGM_RSRC2:TGID_Y_EN: 0
; COMPUTE_PGM_RSRC2:TGID_Z_EN: 0
; COMPUTE_PGM_RSRC2:TIDIG_COMP_CNT: 0
; COMPUTE_PGM_RSRC3_GFX90A:ACCUM_OFFSET: 5
; COMPUTE_PGM_RSRC3_GFX90A:TG_SPLIT: 0
	.section	.text._ZN7rocprim17ROCPRIM_304000_NS6detail25onesweep_iteration_kernelINS1_34wrapped_radix_sort_onesweep_configINS0_14default_configEiN2at4cuda3cub6detail10OpaqueTypeILi1EEEEELb1EPKiPiPKSA_PSA_mNS0_19identity_decomposerEEEvT1_T2_T3_T4_jPT5_SO_PNS1_23onesweep_lookback_stateET6_jjj,"axG",@progbits,_ZN7rocprim17ROCPRIM_304000_NS6detail25onesweep_iteration_kernelINS1_34wrapped_radix_sort_onesweep_configINS0_14default_configEiN2at4cuda3cub6detail10OpaqueTypeILi1EEEEELb1EPKiPiPKSA_PSA_mNS0_19identity_decomposerEEEvT1_T2_T3_T4_jPT5_SO_PNS1_23onesweep_lookback_stateET6_jjj,comdat
	.protected	_ZN7rocprim17ROCPRIM_304000_NS6detail25onesweep_iteration_kernelINS1_34wrapped_radix_sort_onesweep_configINS0_14default_configEiN2at4cuda3cub6detail10OpaqueTypeILi1EEEEELb1EPKiPiPKSA_PSA_mNS0_19identity_decomposerEEEvT1_T2_T3_T4_jPT5_SO_PNS1_23onesweep_lookback_stateET6_jjj ; -- Begin function _ZN7rocprim17ROCPRIM_304000_NS6detail25onesweep_iteration_kernelINS1_34wrapped_radix_sort_onesweep_configINS0_14default_configEiN2at4cuda3cub6detail10OpaqueTypeILi1EEEEELb1EPKiPiPKSA_PSA_mNS0_19identity_decomposerEEEvT1_T2_T3_T4_jPT5_SO_PNS1_23onesweep_lookback_stateET6_jjj
	.globl	_ZN7rocprim17ROCPRIM_304000_NS6detail25onesweep_iteration_kernelINS1_34wrapped_radix_sort_onesweep_configINS0_14default_configEiN2at4cuda3cub6detail10OpaqueTypeILi1EEEEELb1EPKiPiPKSA_PSA_mNS0_19identity_decomposerEEEvT1_T2_T3_T4_jPT5_SO_PNS1_23onesweep_lookback_stateET6_jjj
	.p2align	8
	.type	_ZN7rocprim17ROCPRIM_304000_NS6detail25onesweep_iteration_kernelINS1_34wrapped_radix_sort_onesweep_configINS0_14default_configEiN2at4cuda3cub6detail10OpaqueTypeILi1EEEEELb1EPKiPiPKSA_PSA_mNS0_19identity_decomposerEEEvT1_T2_T3_T4_jPT5_SO_PNS1_23onesweep_lookback_stateET6_jjj,@function
_ZN7rocprim17ROCPRIM_304000_NS6detail25onesweep_iteration_kernelINS1_34wrapped_radix_sort_onesweep_configINS0_14default_configEiN2at4cuda3cub6detail10OpaqueTypeILi1EEEEELb1EPKiPiPKSA_PSA_mNS0_19identity_decomposerEEEvT1_T2_T3_T4_jPT5_SO_PNS1_23onesweep_lookback_stateET6_jjj: ; @_ZN7rocprim17ROCPRIM_304000_NS6detail25onesweep_iteration_kernelINS1_34wrapped_radix_sort_onesweep_configINS0_14default_configEiN2at4cuda3cub6detail10OpaqueTypeILi1EEEEELb1EPKiPiPKSA_PSA_mNS0_19identity_decomposerEEEvT1_T2_T3_T4_jPT5_SO_PNS1_23onesweep_lookback_stateET6_jjj
; %bb.0:
	s_load_dwordx4 s[68:71], s[0:1], 0x44
	s_load_dwordx8 s[56:63], s[0:1], 0x0
	s_load_dwordx4 s[64:67], s[0:1], 0x28
	s_load_dwordx2 s[72:73], s[0:1], 0x38
	s_mul_i32 s54, s2, 0x3000
	s_waitcnt lgkmcnt(0)
	s_cmp_ge_u32 s2, s70
	v_mbcnt_lo_u32_b32 v1, -1, 0
	s_cbranch_scc0 .LBB14_135
; %bb.1:
	s_load_dword s3, s[0:1], 0x20
	s_mul_i32 s6, s70, 0xffffd000
	s_mov_b32 s55, 0
	v_and_b32_e32 v2, 0x3ff, v0
	s_lshl_b64 s[4:5], s[54:55], 2
	s_waitcnt lgkmcnt(0)
	s_add_i32 s55, s6, s3
	s_add_u32 s4, s56, s4
	v_mbcnt_hi_u32_b32 v4, -1, v1
	v_and_b32_e32 v3, 0x3c0, v2
	v_mov_b32_e32 v5, 0
	s_addc_u32 s5, s57, s5
	v_mul_u32_u24_e32 v6, 12, v3
	v_lshlrev_b32_e32 v8, 2, v4
	v_mov_b32_e32 v9, v5
	v_lshl_add_u64 v[8:9], s[4:5], 0, v[8:9]
	v_lshlrev_b32_e32 v10, 2, v6
	v_mov_b32_e32 v11, v5
	v_or_b32_e32 v7, v4, v6
	v_lshl_add_u64 v[8:9], v[8:9], 0, v[10:11]
	v_cmp_gt_u32_e32 vcc, s55, v7
	v_bfrev_b32_e32 v13, 1
	v_bfrev_b32_e32 v3, 1
	s_and_saveexec_b64 s[4:5], vcc
	s_cbranch_execz .LBB14_3
; %bb.2:
	global_load_dword v3, v[8:9], off
.LBB14_3:
	s_or_b64 exec, exec, s[4:5]
	v_add_u32_e32 v10, 64, v7
	v_cmp_gt_u32_e64 s[52:53], s55, v10
	s_and_saveexec_b64 s[4:5], s[52:53]
	s_cbranch_execz .LBB14_5
; %bb.4:
	global_load_dword v13, v[8:9], off offset:256
.LBB14_5:
	s_or_b64 exec, exec, s[4:5]
	v_add_u32_e32 v10, 0x80, v7
	v_cmp_gt_u32_e64 s[4:5], s55, v10
	v_bfrev_b32_e32 v23, 1
	v_bfrev_b32_e32 v18, 1
	s_and_saveexec_b64 s[6:7], s[4:5]
	s_cbranch_execz .LBB14_7
; %bb.6:
	global_load_dword v18, v[8:9], off offset:512
.LBB14_7:
	s_or_b64 exec, exec, s[6:7]
	v_add_u32_e32 v10, 0xc0, v7
	v_cmp_gt_u32_e64 s[6:7], s55, v10
	s_and_saveexec_b64 s[8:9], s[6:7]
	s_cbranch_execz .LBB14_9
; %bb.8:
	global_load_dword v23, v[8:9], off offset:768
.LBB14_9:
	s_or_b64 exec, exec, s[8:9]
	v_add_u32_e32 v10, 0x100, v7
	v_cmp_gt_u32_e64 s[8:9], s55, v10
	v_bfrev_b32_e32 v34, 1
	v_bfrev_b32_e32 v29, 1
	s_and_saveexec_b64 s[10:11], s[8:9]
	s_cbranch_execz .LBB14_11
; %bb.10:
	global_load_dword v29, v[8:9], off offset:1024
.LBB14_11:
	;; [unrolled: 18-line block ×5, first 2 shown]
	s_or_b64 exec, exec, s[22:23]
	v_add_u32_e32 v7, 0x2c0, v7
	v_cmp_gt_u32_e64 s[22:23], s55, v7
	s_and_saveexec_b64 s[24:25], s[22:23]
	s_cbranch_execz .LBB14_25
; %bb.24:
	global_load_dword v12, v[8:9], off offset:2816
.LBB14_25:
	s_or_b64 exec, exec, s[24:25]
	s_load_dword s24, s[0:1], 0x5c
	s_load_dword s3, s[0:1], 0x50
	s_add_u32 s25, s0, 0x50
	s_addc_u32 s26, s1, 0
	v_mov_b32_e32 v9, 0
	s_waitcnt lgkmcnt(0)
	s_lshr_b32 s27, s24, 16
	s_cmp_lt_u32 s2, s3
	s_cselect_b32 s24, 12, 18
	s_add_u32 s24, s25, s24
	s_addc_u32 s25, s26, 0
	global_load_ushort v19, v9, s[24:25]
	s_waitcnt vmcnt(1)
	v_xor_b32_e32 v3, 0x7fffffff, v3
	s_lshl_b32 s24, -1, s69
	v_lshrrev_b32_e32 v15, s68, v3
	s_not_b32 s33, s24
	v_bfe_u32 v8, v0, 10, 10
	v_bfe_u32 v11, v0, 20, 10
	v_and_b32_e32 v22, s33, v15
	v_mad_u32_u24 v20, v11, s27, v8
	v_and_b32_e32 v8, 1, v22
	v_lshlrev_b32_e32 v11, 30, v22
	v_mov_b32_e32 v10, v9
	v_mov_b32_e32 v16, v9
	v_lshlrev_b32_e32 v15, 29, v22
	v_lshlrev_b32_e32 v17, 28, v22
	v_lshl_add_u64 v[42:43], v[8:9], 0, -1
	v_cmp_ne_u32_e64 s[24:25], 0, v8
	v_not_b32_e32 v8, v11
	v_mov_b32_e32 v14, v9
	v_mov_b32_e32 v24, v9
	v_lshlrev_b32_e32 v25, 27, v22
	v_cmp_gt_i64_e64 s[26:27], 0, v[10:11]
	v_not_b32_e32 v10, v15
	v_cmp_gt_i64_e64 s[30:31], 0, v[16:17]
	v_not_b32_e32 v11, v17
	v_xor_b32_e32 v17, s25, v43
	v_ashrrev_i32_e32 v8, 31, v8
	v_cmp_gt_i64_e64 s[28:29], 0, v[14:15]
	v_cmp_gt_i64_e64 s[34:35], 0, v[24:25]
	v_not_b32_e32 v14, v25
	v_xor_b32_e32 v24, s24, v42
	v_ashrrev_i32_e32 v10, 31, v10
	v_and_b32_e32 v17, exec_hi, v17
	v_xor_b32_e32 v25, s27, v8
	v_mov_b32_e32 v30, v9
	v_lshlrev_b32_e32 v31, 26, v22
	v_ashrrev_i32_e32 v11, 31, v11
	v_and_b32_e32 v24, exec_lo, v24
	v_xor_b32_e32 v8, s26, v8
	v_xor_b32_e32 v26, s29, v10
	v_and_b32_e32 v17, v17, v25
	v_lshlrev_b32_e32 v41, 25, v22
	v_cmp_gt_i64_e64 s[36:37], 0, v[30:31]
	v_not_b32_e32 v15, v31
	v_ashrrev_i32_e32 v14, 31, v14
	v_xor_b32_e32 v10, s28, v10
	v_xor_b32_e32 v30, s31, v11
	v_and_b32_e32 v8, v24, v8
	v_and_b32_e32 v17, v17, v26
	v_mov_b32_e32 v40, v9
	v_not_b32_e32 v16, v41
	v_ashrrev_i32_e32 v15, 31, v15
	v_xor_b32_e32 v31, s35, v14
	v_and_b32_e32 v8, v8, v10
	v_and_b32_e32 v10, v17, v30
	v_cmp_gt_i64_e64 s[38:39], 0, v[40:41]
	v_ashrrev_i32_e32 v16, 31, v16
	v_xor_b32_e32 v11, s30, v11
	v_xor_b32_e32 v33, s37, v15
	v_and_b32_e32 v10, v10, v31
	v_xor_b32_e32 v14, s34, v14
	v_xor_b32_e32 v35, s39, v16
	v_and_b32_e32 v8, v8, v11
	v_and_b32_e32 v10, v10, v33
	;; [unrolled: 1-line block ×4, first 2 shown]
	v_xor_b32_e32 v15, s36, v15
	v_xor_b32_e32 v16, s38, v16
	v_and_b32_e32 v8, v8, v15
	v_and_b32_e32 v8, v8, v16
	v_mul_u32_u24_e32 v7, 5, v2
	v_lshl_add_u32 v28, v22, 4, v22
	v_lshlrev_b32_e32 v7, 2, v7
	ds_write2_b32 v7, v9, v9 offset0:16 offset1:17
	ds_write2_b32 v7, v9, v9 offset0:18 offset1:19
	ds_write_b32 v7, v9 offset:80
	s_waitcnt lgkmcnt(0)
	s_barrier
	s_waitcnt lgkmcnt(0)
	; wave barrier
	s_waitcnt vmcnt(0)
	v_mad_u64_u32 v[10:11], s[24:25], v20, v19, v[2:3]
	v_lshrrev_b32_e32 v26, 6, v10
	v_lshlrev_b32_e32 v11, 24, v22
	v_mov_b32_e32 v10, v9
	v_cmp_gt_i64_e64 s[24:25], 0, v[10:11]
	v_not_b32_e32 v10, v11
	v_ashrrev_i32_e32 v10, 31, v10
	v_xor_b32_e32 v11, s25, v10
	v_xor_b32_e32 v10, s24, v10
	v_and_b32_e32 v10, v8, v10
	v_and_b32_e32 v11, v14, v11
	v_mbcnt_lo_u32_b32 v8, v10, 0
	v_mbcnt_hi_u32_b32 v14, v11, v8
	v_cmp_eq_u32_e64 s[24:25], 0, v14
	v_cmp_ne_u64_e64 s[26:27], 0, v[10:11]
	v_add_lshl_u32 v16, v26, v28, 2
	s_and_b64 s[26:27], s[26:27], s[24:25]
	s_and_saveexec_b64 s[24:25], s[26:27]
	s_cbranch_execz .LBB14_27
; %bb.26:
	v_bcnt_u32_b32 v8, v10, 0
	v_bcnt_u32_b32 v8, v11, v8
	ds_write_b32 v16, v8 offset:64
.LBB14_27:
	s_or_b64 exec, exec, s[24:25]
	v_xor_b32_e32 v13, 0x7fffffff, v13
	v_lshrrev_b32_e32 v8, s68, v13
	v_and_b32_e32 v19, s33, v8
	v_lshl_add_u32 v8, v19, 4, v19
	v_add_lshl_u32 v17, v26, v8, 2
	v_and_b32_e32 v8, 1, v19
	v_lshl_add_u64 v[10:11], v[8:9], 0, -1
	v_cmp_ne_u32_e64 s[24:25], 0, v8
	; wave barrier
	s_nop 1
	v_xor_b32_e32 v10, s24, v10
	v_xor_b32_e32 v8, s25, v11
	v_and_b32_e32 v20, exec_lo, v10
	v_lshlrev_b32_e32 v11, 30, v19
	v_mov_b32_e32 v10, v9
	v_cmp_gt_i64_e64 s[24:25], 0, v[10:11]
	v_not_b32_e32 v10, v11
	v_ashrrev_i32_e32 v10, 31, v10
	v_and_b32_e32 v8, exec_hi, v8
	v_xor_b32_e32 v11, s25, v10
	v_xor_b32_e32 v10, s24, v10
	v_and_b32_e32 v8, v8, v11
	v_and_b32_e32 v20, v20, v10
	v_lshlrev_b32_e32 v11, 29, v19
	v_mov_b32_e32 v10, v9
	v_cmp_gt_i64_e64 s[24:25], 0, v[10:11]
	v_not_b32_e32 v10, v11
	v_ashrrev_i32_e32 v10, 31, v10
	v_xor_b32_e32 v11, s25, v10
	v_xor_b32_e32 v10, s24, v10
	v_and_b32_e32 v8, v8, v11
	v_and_b32_e32 v20, v20, v10
	v_lshlrev_b32_e32 v11, 28, v19
	v_mov_b32_e32 v10, v9
	v_cmp_gt_i64_e64 s[24:25], 0, v[10:11]
	v_not_b32_e32 v10, v11
	v_ashrrev_i32_e32 v10, 31, v10
	;; [unrolled: 9-line block ×5, first 2 shown]
	v_xor_b32_e32 v11, s25, v10
	v_xor_b32_e32 v10, s24, v10
	v_and_b32_e32 v8, v8, v11
	v_lshlrev_b32_e32 v11, 24, v19
	v_and_b32_e32 v20, v20, v10
	v_mov_b32_e32 v10, v9
	v_not_b32_e32 v9, v11
	v_cmp_gt_i64_e64 s[24:25], 0, v[10:11]
	v_ashrrev_i32_e32 v9, 31, v9
	ds_read_b32 v15, v17 offset:64
	v_xor_b32_e32 v10, s25, v9
	v_xor_b32_e32 v11, s24, v9
	v_and_b32_e32 v9, v8, v10
	v_and_b32_e32 v8, v20, v11
	v_mbcnt_lo_u32_b32 v10, v8, 0
	v_mbcnt_hi_u32_b32 v19, v9, v10
	v_cmp_eq_u32_e64 s[24:25], 0, v19
	v_cmp_ne_u64_e64 s[26:27], 0, v[8:9]
	s_and_b64 s[26:27], s[26:27], s[24:25]
	; wave barrier
	s_and_saveexec_b64 s[24:25], s[26:27]
	s_cbranch_execz .LBB14_29
; %bb.28:
	v_bcnt_u32_b32 v8, v8, 0
	v_bcnt_u32_b32 v8, v9, v8
	s_waitcnt lgkmcnt(0)
	v_add_u32_e32 v8, v15, v8
	ds_write_b32 v17, v8 offset:64
.LBB14_29:
	s_or_b64 exec, exec, s[24:25]
	v_xor_b32_e32 v18, 0x7fffffff, v18
	v_lshrrev_b32_e32 v8, s68, v18
	v_and_b32_e32 v24, s33, v8
	v_lshl_add_u32 v8, v24, 4, v24
	v_add_lshl_u32 v22, v26, v8, 2
	v_and_b32_e32 v8, 1, v24
	v_mov_b32_e32 v9, 0
	v_lshl_add_u64 v[10:11], v[8:9], 0, -1
	v_cmp_ne_u32_e64 s[24:25], 0, v8
	; wave barrier
	s_nop 1
	v_xor_b32_e32 v10, s24, v10
	v_xor_b32_e32 v8, s25, v11
	v_and_b32_e32 v25, exec_lo, v10
	v_lshlrev_b32_e32 v11, 30, v24
	v_mov_b32_e32 v10, v9
	v_cmp_gt_i64_e64 s[24:25], 0, v[10:11]
	v_not_b32_e32 v10, v11
	v_ashrrev_i32_e32 v10, 31, v10
	v_and_b32_e32 v8, exec_hi, v8
	v_xor_b32_e32 v11, s25, v10
	v_xor_b32_e32 v10, s24, v10
	v_and_b32_e32 v8, v8, v11
	v_and_b32_e32 v25, v25, v10
	v_lshlrev_b32_e32 v11, 29, v24
	v_mov_b32_e32 v10, v9
	v_cmp_gt_i64_e64 s[24:25], 0, v[10:11]
	v_not_b32_e32 v10, v11
	v_ashrrev_i32_e32 v10, 31, v10
	v_xor_b32_e32 v11, s25, v10
	v_xor_b32_e32 v10, s24, v10
	v_and_b32_e32 v8, v8, v11
	v_and_b32_e32 v25, v25, v10
	v_lshlrev_b32_e32 v11, 28, v24
	v_mov_b32_e32 v10, v9
	v_cmp_gt_i64_e64 s[24:25], 0, v[10:11]
	v_not_b32_e32 v10, v11
	v_ashrrev_i32_e32 v10, 31, v10
	;; [unrolled: 9-line block ×6, first 2 shown]
	v_xor_b32_e32 v11, s25, v10
	v_xor_b32_e32 v10, s24, v10
	ds_read_b32 v20, v22 offset:64
	v_and_b32_e32 v10, v25, v10
	v_and_b32_e32 v11, v8, v11
	v_mbcnt_lo_u32_b32 v8, v10, 0
	v_mbcnt_hi_u32_b32 v24, v11, v8
	v_cmp_eq_u32_e64 s[24:25], 0, v24
	v_cmp_ne_u64_e64 s[26:27], 0, v[10:11]
	s_and_b64 s[26:27], s[26:27], s[24:25]
	; wave barrier
	s_and_saveexec_b64 s[24:25], s[26:27]
	s_cbranch_execz .LBB14_31
; %bb.30:
	v_bcnt_u32_b32 v8, v10, 0
	v_bcnt_u32_b32 v8, v11, v8
	s_waitcnt lgkmcnt(0)
	v_add_u32_e32 v8, v20, v8
	ds_write_b32 v22, v8 offset:64
.LBB14_31:
	s_or_b64 exec, exec, s[24:25]
	v_xor_b32_e32 v23, 0x7fffffff, v23
	v_lshrrev_b32_e32 v8, s68, v23
	v_and_b32_e32 v30, s33, v8
	v_lshl_add_u32 v8, v30, 4, v30
	v_add_lshl_u32 v28, v26, v8, 2
	v_and_b32_e32 v8, 1, v30
	v_lshl_add_u64 v[10:11], v[8:9], 0, -1
	v_cmp_ne_u32_e64 s[24:25], 0, v8
	; wave barrier
	s_nop 1
	v_xor_b32_e32 v10, s24, v10
	v_xor_b32_e32 v8, s25, v11
	v_and_b32_e32 v31, exec_lo, v10
	v_lshlrev_b32_e32 v11, 30, v30
	v_mov_b32_e32 v10, v9
	v_cmp_gt_i64_e64 s[24:25], 0, v[10:11]
	v_not_b32_e32 v10, v11
	v_ashrrev_i32_e32 v10, 31, v10
	v_and_b32_e32 v8, exec_hi, v8
	v_xor_b32_e32 v11, s25, v10
	v_xor_b32_e32 v10, s24, v10
	v_and_b32_e32 v8, v8, v11
	v_and_b32_e32 v31, v31, v10
	v_lshlrev_b32_e32 v11, 29, v30
	v_mov_b32_e32 v10, v9
	v_cmp_gt_i64_e64 s[24:25], 0, v[10:11]
	v_not_b32_e32 v10, v11
	v_ashrrev_i32_e32 v10, 31, v10
	v_xor_b32_e32 v11, s25, v10
	v_xor_b32_e32 v10, s24, v10
	v_and_b32_e32 v8, v8, v11
	v_and_b32_e32 v31, v31, v10
	v_lshlrev_b32_e32 v11, 28, v30
	v_mov_b32_e32 v10, v9
	v_cmp_gt_i64_e64 s[24:25], 0, v[10:11]
	v_not_b32_e32 v10, v11
	v_ashrrev_i32_e32 v10, 31, v10
	;; [unrolled: 9-line block ×5, first 2 shown]
	v_xor_b32_e32 v11, s25, v10
	v_xor_b32_e32 v10, s24, v10
	v_and_b32_e32 v8, v8, v11
	v_lshlrev_b32_e32 v11, 24, v30
	v_and_b32_e32 v31, v31, v10
	v_mov_b32_e32 v10, v9
	v_not_b32_e32 v9, v11
	v_cmp_gt_i64_e64 s[24:25], 0, v[10:11]
	v_ashrrev_i32_e32 v9, 31, v9
	ds_read_b32 v25, v28 offset:64
	v_xor_b32_e32 v10, s25, v9
	v_xor_b32_e32 v11, s24, v9
	v_and_b32_e32 v9, v8, v10
	v_and_b32_e32 v8, v31, v11
	v_mbcnt_lo_u32_b32 v10, v8, 0
	v_mbcnt_hi_u32_b32 v30, v9, v10
	v_cmp_eq_u32_e64 s[24:25], 0, v30
	v_cmp_ne_u64_e64 s[26:27], 0, v[8:9]
	s_and_b64 s[26:27], s[26:27], s[24:25]
	; wave barrier
	s_and_saveexec_b64 s[24:25], s[26:27]
	s_cbranch_execz .LBB14_33
; %bb.32:
	v_bcnt_u32_b32 v8, v8, 0
	v_bcnt_u32_b32 v8, v9, v8
	s_waitcnt lgkmcnt(0)
	v_add_u32_e32 v8, v25, v8
	ds_write_b32 v28, v8 offset:64
.LBB14_33:
	s_or_b64 exec, exec, s[24:25]
	v_xor_b32_e32 v29, 0x7fffffff, v29
	v_lshrrev_b32_e32 v8, s68, v29
	v_and_b32_e32 v35, s33, v8
	v_lshl_add_u32 v8, v35, 4, v35
	v_add_lshl_u32 v33, v26, v8, 2
	v_and_b32_e32 v8, 1, v35
	v_mov_b32_e32 v9, 0
	v_lshl_add_u64 v[10:11], v[8:9], 0, -1
	v_cmp_ne_u32_e64 s[24:25], 0, v8
	; wave barrier
	s_nop 1
	v_xor_b32_e32 v10, s24, v10
	v_xor_b32_e32 v8, s25, v11
	v_and_b32_e32 v37, exec_lo, v10
	v_lshlrev_b32_e32 v11, 30, v35
	v_mov_b32_e32 v10, v9
	v_cmp_gt_i64_e64 s[24:25], 0, v[10:11]
	v_not_b32_e32 v10, v11
	v_ashrrev_i32_e32 v10, 31, v10
	v_and_b32_e32 v8, exec_hi, v8
	v_xor_b32_e32 v11, s25, v10
	v_xor_b32_e32 v10, s24, v10
	v_and_b32_e32 v8, v8, v11
	v_and_b32_e32 v37, v37, v10
	v_lshlrev_b32_e32 v11, 29, v35
	v_mov_b32_e32 v10, v9
	v_cmp_gt_i64_e64 s[24:25], 0, v[10:11]
	v_not_b32_e32 v10, v11
	v_ashrrev_i32_e32 v10, 31, v10
	v_xor_b32_e32 v11, s25, v10
	v_xor_b32_e32 v10, s24, v10
	v_and_b32_e32 v8, v8, v11
	v_and_b32_e32 v37, v37, v10
	v_lshlrev_b32_e32 v11, 28, v35
	v_mov_b32_e32 v10, v9
	v_cmp_gt_i64_e64 s[24:25], 0, v[10:11]
	v_not_b32_e32 v10, v11
	v_ashrrev_i32_e32 v10, 31, v10
	;; [unrolled: 9-line block ×6, first 2 shown]
	v_xor_b32_e32 v11, s25, v10
	v_xor_b32_e32 v10, s24, v10
	ds_read_b32 v31, v33 offset:64
	v_and_b32_e32 v10, v37, v10
	v_and_b32_e32 v11, v8, v11
	v_mbcnt_lo_u32_b32 v8, v10, 0
	v_mbcnt_hi_u32_b32 v35, v11, v8
	v_cmp_eq_u32_e64 s[24:25], 0, v35
	v_cmp_ne_u64_e64 s[26:27], 0, v[10:11]
	s_and_b64 s[26:27], s[26:27], s[24:25]
	; wave barrier
	s_and_saveexec_b64 s[24:25], s[26:27]
	s_cbranch_execz .LBB14_35
; %bb.34:
	v_bcnt_u32_b32 v8, v10, 0
	v_bcnt_u32_b32 v8, v11, v8
	s_waitcnt lgkmcnt(0)
	v_add_u32_e32 v8, v31, v8
	ds_write_b32 v33, v8 offset:64
.LBB14_35:
	s_or_b64 exec, exec, s[24:25]
	v_xor_b32_e32 v34, 0x7fffffff, v34
	v_lshrrev_b32_e32 v8, s68, v34
	v_and_b32_e32 v40, s33, v8
	v_lshl_add_u32 v8, v40, 4, v40
	v_add_lshl_u32 v38, v26, v8, 2
	v_and_b32_e32 v8, 1, v40
	v_lshl_add_u64 v[10:11], v[8:9], 0, -1
	v_cmp_ne_u32_e64 s[24:25], 0, v8
	; wave barrier
	s_nop 1
	v_xor_b32_e32 v10, s24, v10
	v_xor_b32_e32 v8, s25, v11
	v_and_b32_e32 v41, exec_lo, v10
	v_lshlrev_b32_e32 v11, 30, v40
	v_mov_b32_e32 v10, v9
	v_cmp_gt_i64_e64 s[24:25], 0, v[10:11]
	v_not_b32_e32 v10, v11
	v_ashrrev_i32_e32 v10, 31, v10
	v_and_b32_e32 v8, exec_hi, v8
	v_xor_b32_e32 v11, s25, v10
	v_xor_b32_e32 v10, s24, v10
	v_and_b32_e32 v8, v8, v11
	v_and_b32_e32 v41, v41, v10
	v_lshlrev_b32_e32 v11, 29, v40
	v_mov_b32_e32 v10, v9
	v_cmp_gt_i64_e64 s[24:25], 0, v[10:11]
	v_not_b32_e32 v10, v11
	v_ashrrev_i32_e32 v10, 31, v10
	v_xor_b32_e32 v11, s25, v10
	v_xor_b32_e32 v10, s24, v10
	v_and_b32_e32 v8, v8, v11
	v_and_b32_e32 v41, v41, v10
	v_lshlrev_b32_e32 v11, 28, v40
	v_mov_b32_e32 v10, v9
	v_cmp_gt_i64_e64 s[24:25], 0, v[10:11]
	v_not_b32_e32 v10, v11
	v_ashrrev_i32_e32 v10, 31, v10
	;; [unrolled: 9-line block ×5, first 2 shown]
	v_xor_b32_e32 v11, s25, v10
	v_xor_b32_e32 v10, s24, v10
	v_and_b32_e32 v8, v8, v11
	v_lshlrev_b32_e32 v11, 24, v40
	v_and_b32_e32 v41, v41, v10
	v_mov_b32_e32 v10, v9
	v_not_b32_e32 v9, v11
	v_cmp_gt_i64_e64 s[24:25], 0, v[10:11]
	v_ashrrev_i32_e32 v9, 31, v9
	ds_read_b32 v37, v38 offset:64
	v_xor_b32_e32 v10, s25, v9
	v_xor_b32_e32 v11, s24, v9
	v_and_b32_e32 v9, v8, v10
	v_and_b32_e32 v8, v41, v11
	v_mbcnt_lo_u32_b32 v10, v8, 0
	v_mbcnt_hi_u32_b32 v40, v9, v10
	v_cmp_eq_u32_e64 s[24:25], 0, v40
	v_cmp_ne_u64_e64 s[26:27], 0, v[8:9]
	s_and_b64 s[26:27], s[26:27], s[24:25]
	; wave barrier
	s_and_saveexec_b64 s[24:25], s[26:27]
	s_cbranch_execz .LBB14_37
; %bb.36:
	v_bcnt_u32_b32 v8, v8, 0
	v_bcnt_u32_b32 v8, v9, v8
	s_waitcnt lgkmcnt(0)
	v_add_u32_e32 v8, v37, v8
	ds_write_b32 v38, v8 offset:64
.LBB14_37:
	s_or_b64 exec, exec, s[24:25]
	v_xor_b32_e32 v39, 0x7fffffff, v39
	v_lshrrev_b32_e32 v8, s68, v39
	v_and_b32_e32 v43, s33, v8
	v_lshl_add_u32 v8, v43, 4, v43
	v_add_lshl_u32 v42, v26, v8, 2
	v_and_b32_e32 v8, 1, v43
	v_mov_b32_e32 v9, 0
	v_lshl_add_u64 v[10:11], v[8:9], 0, -1
	v_cmp_ne_u32_e64 s[24:25], 0, v8
	; wave barrier
	s_nop 1
	v_xor_b32_e32 v10, s24, v10
	v_xor_b32_e32 v8, s25, v11
	v_and_b32_e32 v44, exec_lo, v10
	v_lshlrev_b32_e32 v11, 30, v43
	v_mov_b32_e32 v10, v9
	v_cmp_gt_i64_e64 s[24:25], 0, v[10:11]
	v_not_b32_e32 v10, v11
	v_ashrrev_i32_e32 v10, 31, v10
	v_and_b32_e32 v8, exec_hi, v8
	v_xor_b32_e32 v11, s25, v10
	v_xor_b32_e32 v10, s24, v10
	v_and_b32_e32 v8, v8, v11
	v_and_b32_e32 v44, v44, v10
	v_lshlrev_b32_e32 v11, 29, v43
	v_mov_b32_e32 v10, v9
	v_cmp_gt_i64_e64 s[24:25], 0, v[10:11]
	v_not_b32_e32 v10, v11
	v_ashrrev_i32_e32 v10, 31, v10
	v_xor_b32_e32 v11, s25, v10
	v_xor_b32_e32 v10, s24, v10
	v_and_b32_e32 v8, v8, v11
	v_and_b32_e32 v44, v44, v10
	v_lshlrev_b32_e32 v11, 28, v43
	v_mov_b32_e32 v10, v9
	v_cmp_gt_i64_e64 s[24:25], 0, v[10:11]
	v_not_b32_e32 v10, v11
	v_ashrrev_i32_e32 v10, 31, v10
	;; [unrolled: 9-line block ×6, first 2 shown]
	v_xor_b32_e32 v11, s25, v10
	v_xor_b32_e32 v10, s24, v10
	ds_read_b32 v41, v42 offset:64
	v_and_b32_e32 v10, v44, v10
	v_and_b32_e32 v11, v8, v11
	v_mbcnt_lo_u32_b32 v8, v10, 0
	v_mbcnt_hi_u32_b32 v44, v11, v8
	v_cmp_eq_u32_e64 s[24:25], 0, v44
	v_cmp_ne_u64_e64 s[26:27], 0, v[10:11]
	s_and_b64 s[26:27], s[26:27], s[24:25]
	; wave barrier
	s_and_saveexec_b64 s[24:25], s[26:27]
	s_cbranch_execz .LBB14_39
; %bb.38:
	v_bcnt_u32_b32 v8, v10, 0
	v_bcnt_u32_b32 v8, v11, v8
	s_waitcnt lgkmcnt(0)
	v_add_u32_e32 v8, v41, v8
	ds_write_b32 v42, v8 offset:64
.LBB14_39:
	s_or_b64 exec, exec, s[24:25]
	v_xor_b32_e32 v43, 0x7fffffff, v36
	v_lshrrev_b32_e32 v8, s68, v43
	v_and_b32_e32 v46, s33, v8
	v_lshl_add_u32 v8, v46, 4, v46
	v_add_lshl_u32 v45, v26, v8, 2
	v_and_b32_e32 v8, 1, v46
	v_lshl_add_u64 v[10:11], v[8:9], 0, -1
	v_cmp_ne_u32_e64 s[24:25], 0, v8
	; wave barrier
	s_nop 1
	v_xor_b32_e32 v10, s24, v10
	v_xor_b32_e32 v8, s25, v11
	v_and_b32_e32 v47, exec_lo, v10
	v_lshlrev_b32_e32 v11, 30, v46
	v_mov_b32_e32 v10, v9
	v_cmp_gt_i64_e64 s[24:25], 0, v[10:11]
	v_not_b32_e32 v10, v11
	v_ashrrev_i32_e32 v10, 31, v10
	v_and_b32_e32 v8, exec_hi, v8
	v_xor_b32_e32 v11, s25, v10
	v_xor_b32_e32 v10, s24, v10
	v_and_b32_e32 v8, v8, v11
	v_and_b32_e32 v47, v47, v10
	v_lshlrev_b32_e32 v11, 29, v46
	v_mov_b32_e32 v10, v9
	v_cmp_gt_i64_e64 s[24:25], 0, v[10:11]
	v_not_b32_e32 v10, v11
	v_ashrrev_i32_e32 v10, 31, v10
	v_xor_b32_e32 v11, s25, v10
	v_xor_b32_e32 v10, s24, v10
	v_and_b32_e32 v8, v8, v11
	v_and_b32_e32 v47, v47, v10
	v_lshlrev_b32_e32 v11, 28, v46
	v_mov_b32_e32 v10, v9
	v_cmp_gt_i64_e64 s[24:25], 0, v[10:11]
	v_not_b32_e32 v10, v11
	v_ashrrev_i32_e32 v10, 31, v10
	v_xor_b32_e32 v11, s25, v10
	v_xor_b32_e32 v10, s24, v10
	v_and_b32_e32 v8, v8, v11
	v_and_b32_e32 v47, v47, v10
	v_lshlrev_b32_e32 v11, 27, v46
	v_mov_b32_e32 v10, v9
	v_cmp_gt_i64_e64 s[24:25], 0, v[10:11]
	v_not_b32_e32 v10, v11
	v_ashrrev_i32_e32 v10, 31, v10
	v_xor_b32_e32 v11, s25, v10
	v_xor_b32_e32 v10, s24, v10
	v_and_b32_e32 v8, v8, v11
	v_and_b32_e32 v47, v47, v10
	v_lshlrev_b32_e32 v11, 26, v46
	v_mov_b32_e32 v10, v9
	v_cmp_gt_i64_e64 s[24:25], 0, v[10:11]
	v_not_b32_e32 v10, v11
	v_ashrrev_i32_e32 v10, 31, v10
	v_xor_b32_e32 v11, s25, v10
	v_xor_b32_e32 v10, s24, v10
	v_and_b32_e32 v8, v8, v11
	v_and_b32_e32 v47, v47, v10
	v_lshlrev_b32_e32 v11, 25, v46
	v_mov_b32_e32 v10, v9
	v_cmp_gt_i64_e64 s[24:25], 0, v[10:11]
	v_not_b32_e32 v10, v11
	v_ashrrev_i32_e32 v10, 31, v10
	v_xor_b32_e32 v11, s25, v10
	v_xor_b32_e32 v10, s24, v10
	v_and_b32_e32 v8, v8, v11
	v_lshlrev_b32_e32 v11, 24, v46
	v_and_b32_e32 v47, v47, v10
	v_mov_b32_e32 v10, v9
	v_not_b32_e32 v9, v11
	v_cmp_gt_i64_e64 s[24:25], 0, v[10:11]
	v_ashrrev_i32_e32 v9, 31, v9
	ds_read_b32 v36, v45 offset:64
	v_xor_b32_e32 v10, s25, v9
	v_xor_b32_e32 v11, s24, v9
	v_and_b32_e32 v9, v8, v10
	v_and_b32_e32 v8, v47, v11
	v_mbcnt_lo_u32_b32 v10, v8, 0
	v_mbcnt_hi_u32_b32 v47, v9, v10
	v_cmp_eq_u32_e64 s[24:25], 0, v47
	v_cmp_ne_u64_e64 s[26:27], 0, v[8:9]
	s_and_b64 s[26:27], s[26:27], s[24:25]
	; wave barrier
	s_and_saveexec_b64 s[24:25], s[26:27]
	s_cbranch_execz .LBB14_41
; %bb.40:
	v_bcnt_u32_b32 v8, v8, 0
	v_bcnt_u32_b32 v8, v9, v8
	s_waitcnt lgkmcnt(0)
	v_add_u32_e32 v8, v36, v8
	ds_write_b32 v45, v8 offset:64
.LBB14_41:
	s_or_b64 exec, exec, s[24:25]
	v_xor_b32_e32 v46, 0x7fffffff, v32
	v_lshrrev_b32_e32 v8, s68, v46
	v_and_b32_e32 v49, s33, v8
	v_lshl_add_u32 v8, v49, 4, v49
	v_add_lshl_u32 v32, v26, v8, 2
	v_and_b32_e32 v8, 1, v49
	v_mov_b32_e32 v9, 0
	v_lshl_add_u64 v[10:11], v[8:9], 0, -1
	v_cmp_ne_u32_e64 s[24:25], 0, v8
	; wave barrier
	s_nop 1
	v_xor_b32_e32 v10, s24, v10
	v_xor_b32_e32 v8, s25, v11
	v_and_b32_e32 v50, exec_lo, v10
	v_lshlrev_b32_e32 v11, 30, v49
	v_mov_b32_e32 v10, v9
	v_cmp_gt_i64_e64 s[24:25], 0, v[10:11]
	v_not_b32_e32 v10, v11
	v_ashrrev_i32_e32 v10, 31, v10
	v_and_b32_e32 v8, exec_hi, v8
	v_xor_b32_e32 v11, s25, v10
	v_xor_b32_e32 v10, s24, v10
	v_and_b32_e32 v8, v8, v11
	v_and_b32_e32 v50, v50, v10
	v_lshlrev_b32_e32 v11, 29, v49
	v_mov_b32_e32 v10, v9
	v_cmp_gt_i64_e64 s[24:25], 0, v[10:11]
	v_not_b32_e32 v10, v11
	v_ashrrev_i32_e32 v10, 31, v10
	v_xor_b32_e32 v11, s25, v10
	v_xor_b32_e32 v10, s24, v10
	v_and_b32_e32 v8, v8, v11
	v_and_b32_e32 v50, v50, v10
	v_lshlrev_b32_e32 v11, 28, v49
	v_mov_b32_e32 v10, v9
	v_cmp_gt_i64_e64 s[24:25], 0, v[10:11]
	v_not_b32_e32 v10, v11
	v_ashrrev_i32_e32 v10, 31, v10
	;; [unrolled: 9-line block ×6, first 2 shown]
	v_xor_b32_e32 v11, s25, v10
	v_xor_b32_e32 v10, s24, v10
	ds_read_b32 v48, v32 offset:64
	v_and_b32_e32 v10, v50, v10
	v_and_b32_e32 v11, v8, v11
	v_mbcnt_lo_u32_b32 v8, v10, 0
	v_mbcnt_hi_u32_b32 v50, v11, v8
	v_cmp_eq_u32_e64 s[24:25], 0, v50
	v_cmp_ne_u64_e64 s[26:27], 0, v[10:11]
	s_and_b64 s[26:27], s[26:27], s[24:25]
	; wave barrier
	s_and_saveexec_b64 s[24:25], s[26:27]
	s_cbranch_execz .LBB14_43
; %bb.42:
	v_bcnt_u32_b32 v8, v10, 0
	v_bcnt_u32_b32 v8, v11, v8
	s_waitcnt lgkmcnt(0)
	v_add_u32_e32 v8, v48, v8
	ds_write_b32 v32, v8 offset:64
.LBB14_43:
	s_or_b64 exec, exec, s[24:25]
	v_xor_b32_e32 v49, 0x7fffffff, v27
	v_lshrrev_b32_e32 v8, s68, v49
	v_and_b32_e32 v52, s33, v8
	v_lshl_add_u32 v8, v52, 4, v52
	v_add_lshl_u32 v27, v26, v8, 2
	v_and_b32_e32 v8, 1, v52
	v_lshl_add_u64 v[10:11], v[8:9], 0, -1
	v_cmp_ne_u32_e64 s[24:25], 0, v8
	; wave barrier
	s_nop 1
	v_xor_b32_e32 v10, s24, v10
	v_xor_b32_e32 v8, s25, v11
	v_and_b32_e32 v53, exec_lo, v10
	v_lshlrev_b32_e32 v11, 30, v52
	v_mov_b32_e32 v10, v9
	v_cmp_gt_i64_e64 s[24:25], 0, v[10:11]
	v_not_b32_e32 v10, v11
	v_ashrrev_i32_e32 v10, 31, v10
	v_and_b32_e32 v8, exec_hi, v8
	v_xor_b32_e32 v11, s25, v10
	v_xor_b32_e32 v10, s24, v10
	v_and_b32_e32 v8, v8, v11
	v_and_b32_e32 v53, v53, v10
	v_lshlrev_b32_e32 v11, 29, v52
	v_mov_b32_e32 v10, v9
	v_cmp_gt_i64_e64 s[24:25], 0, v[10:11]
	v_not_b32_e32 v10, v11
	v_ashrrev_i32_e32 v10, 31, v10
	v_xor_b32_e32 v11, s25, v10
	v_xor_b32_e32 v10, s24, v10
	v_and_b32_e32 v8, v8, v11
	v_and_b32_e32 v53, v53, v10
	v_lshlrev_b32_e32 v11, 28, v52
	v_mov_b32_e32 v10, v9
	v_cmp_gt_i64_e64 s[24:25], 0, v[10:11]
	v_not_b32_e32 v10, v11
	v_ashrrev_i32_e32 v10, 31, v10
	;; [unrolled: 9-line block ×5, first 2 shown]
	v_xor_b32_e32 v11, s25, v10
	v_xor_b32_e32 v10, s24, v10
	v_and_b32_e32 v8, v8, v11
	v_lshlrev_b32_e32 v11, 24, v52
	v_and_b32_e32 v53, v53, v10
	v_mov_b32_e32 v10, v9
	v_not_b32_e32 v9, v11
	v_cmp_gt_i64_e64 s[24:25], 0, v[10:11]
	v_ashrrev_i32_e32 v9, 31, v9
	ds_read_b32 v51, v27 offset:64
	v_xor_b32_e32 v10, s25, v9
	v_xor_b32_e32 v11, s24, v9
	v_and_b32_e32 v9, v8, v10
	v_and_b32_e32 v8, v53, v11
	v_mbcnt_lo_u32_b32 v10, v8, 0
	v_mbcnt_hi_u32_b32 v53, v9, v10
	v_cmp_eq_u32_e64 s[24:25], 0, v53
	v_cmp_ne_u64_e64 s[26:27], 0, v[8:9]
	s_and_b64 s[26:27], s[26:27], s[24:25]
	; wave barrier
	s_and_saveexec_b64 s[24:25], s[26:27]
	s_cbranch_execz .LBB14_45
; %bb.44:
	v_bcnt_u32_b32 v8, v8, 0
	v_bcnt_u32_b32 v8, v9, v8
	s_waitcnt lgkmcnt(0)
	v_add_u32_e32 v8, v51, v8
	ds_write_b32 v27, v8 offset:64
.LBB14_45:
	s_or_b64 exec, exec, s[24:25]
	v_xor_b32_e32 v52, 0x7fffffff, v21
	v_lshrrev_b32_e32 v8, s68, v52
	v_and_b32_e32 v55, s33, v8
	v_lshl_add_u32 v8, v55, 4, v55
	v_add_lshl_u32 v21, v26, v8, 2
	v_and_b32_e32 v8, 1, v55
	v_mov_b32_e32 v9, 0
	v_lshl_add_u64 v[10:11], v[8:9], 0, -1
	v_cmp_ne_u32_e64 s[24:25], 0, v8
	; wave barrier
	s_nop 1
	v_xor_b32_e32 v10, s24, v10
	v_xor_b32_e32 v8, s25, v11
	v_and_b32_e32 v56, exec_lo, v10
	v_lshlrev_b32_e32 v11, 30, v55
	v_mov_b32_e32 v10, v9
	v_cmp_gt_i64_e64 s[24:25], 0, v[10:11]
	v_not_b32_e32 v10, v11
	v_ashrrev_i32_e32 v10, 31, v10
	v_and_b32_e32 v8, exec_hi, v8
	v_xor_b32_e32 v11, s25, v10
	v_xor_b32_e32 v10, s24, v10
	v_and_b32_e32 v8, v8, v11
	v_and_b32_e32 v56, v56, v10
	v_lshlrev_b32_e32 v11, 29, v55
	v_mov_b32_e32 v10, v9
	v_cmp_gt_i64_e64 s[24:25], 0, v[10:11]
	v_not_b32_e32 v10, v11
	v_ashrrev_i32_e32 v10, 31, v10
	v_xor_b32_e32 v11, s25, v10
	v_xor_b32_e32 v10, s24, v10
	v_and_b32_e32 v8, v8, v11
	v_and_b32_e32 v56, v56, v10
	v_lshlrev_b32_e32 v11, 28, v55
	v_mov_b32_e32 v10, v9
	v_cmp_gt_i64_e64 s[24:25], 0, v[10:11]
	v_not_b32_e32 v10, v11
	v_ashrrev_i32_e32 v10, 31, v10
	v_xor_b32_e32 v11, s25, v10
	v_xor_b32_e32 v10, s24, v10
	v_and_b32_e32 v8, v8, v11
	v_and_b32_e32 v56, v56, v10
	v_lshlrev_b32_e32 v11, 27, v55
	v_mov_b32_e32 v10, v9
	v_cmp_gt_i64_e64 s[24:25], 0, v[10:11]
	v_not_b32_e32 v10, v11
	v_ashrrev_i32_e32 v10, 31, v10
	v_xor_b32_e32 v11, s25, v10
	v_xor_b32_e32 v10, s24, v10
	v_and_b32_e32 v8, v8, v11
	v_and_b32_e32 v56, v56, v10
	v_lshlrev_b32_e32 v11, 26, v55
	v_mov_b32_e32 v10, v9
	v_cmp_gt_i64_e64 s[24:25], 0, v[10:11]
	v_not_b32_e32 v10, v11
	v_ashrrev_i32_e32 v10, 31, v10
	v_xor_b32_e32 v11, s25, v10
	v_xor_b32_e32 v10, s24, v10
	v_and_b32_e32 v8, v8, v11
	v_and_b32_e32 v56, v56, v10
	v_lshlrev_b32_e32 v11, 25, v55
	v_mov_b32_e32 v10, v9
	v_cmp_gt_i64_e64 s[24:25], 0, v[10:11]
	v_not_b32_e32 v10, v11
	v_ashrrev_i32_e32 v10, 31, v10
	v_xor_b32_e32 v11, s25, v10
	v_xor_b32_e32 v10, s24, v10
	v_and_b32_e32 v8, v8, v11
	v_and_b32_e32 v56, v56, v10
	v_lshlrev_b32_e32 v11, 24, v55
	v_mov_b32_e32 v10, v9
	v_cmp_gt_i64_e64 s[24:25], 0, v[10:11]
	v_not_b32_e32 v10, v11
	v_ashrrev_i32_e32 v10, 31, v10
	v_xor_b32_e32 v11, s25, v10
	v_xor_b32_e32 v10, s24, v10
	ds_read_b32 v54, v21 offset:64
	v_and_b32_e32 v10, v56, v10
	v_and_b32_e32 v11, v8, v11
	v_mbcnt_lo_u32_b32 v8, v10, 0
	v_mbcnt_hi_u32_b32 v56, v11, v8
	v_cmp_eq_u32_e64 s[24:25], 0, v56
	v_cmp_ne_u64_e64 s[26:27], 0, v[10:11]
	s_and_b64 s[26:27], s[26:27], s[24:25]
	; wave barrier
	s_and_saveexec_b64 s[24:25], s[26:27]
	s_cbranch_execz .LBB14_47
; %bb.46:
	v_bcnt_u32_b32 v8, v10, 0
	v_bcnt_u32_b32 v8, v11, v8
	s_waitcnt lgkmcnt(0)
	v_add_u32_e32 v8, v54, v8
	ds_write_b32 v21, v8 offset:64
.LBB14_47:
	s_or_b64 exec, exec, s[24:25]
	v_xor_b32_e32 v55, 0x7fffffff, v12
	v_lshrrev_b32_e32 v8, s68, v55
	v_and_b32_e32 v12, s33, v8
	v_lshl_add_u32 v8, v12, 4, v12
	v_add_lshl_u32 v57, v26, v8, 2
	v_and_b32_e32 v8, 1, v12
	v_lshl_add_u64 v[10:11], v[8:9], 0, -1
	v_cmp_ne_u32_e64 s[24:25], 0, v8
	; wave barrier
	s_nop 1
	v_xor_b32_e32 v10, s24, v10
	v_xor_b32_e32 v8, s25, v11
	v_and_b32_e32 v59, exec_lo, v10
	v_lshlrev_b32_e32 v11, 30, v12
	v_mov_b32_e32 v10, v9
	v_cmp_gt_i64_e64 s[24:25], 0, v[10:11]
	v_not_b32_e32 v10, v11
	v_ashrrev_i32_e32 v10, 31, v10
	v_and_b32_e32 v8, exec_hi, v8
	v_xor_b32_e32 v11, s25, v10
	v_xor_b32_e32 v10, s24, v10
	v_and_b32_e32 v8, v8, v11
	v_and_b32_e32 v59, v59, v10
	v_lshlrev_b32_e32 v11, 29, v12
	v_mov_b32_e32 v10, v9
	v_cmp_gt_i64_e64 s[24:25], 0, v[10:11]
	v_not_b32_e32 v10, v11
	v_ashrrev_i32_e32 v10, 31, v10
	v_xor_b32_e32 v11, s25, v10
	v_xor_b32_e32 v10, s24, v10
	v_and_b32_e32 v8, v8, v11
	v_and_b32_e32 v59, v59, v10
	v_lshlrev_b32_e32 v11, 28, v12
	v_mov_b32_e32 v10, v9
	v_cmp_gt_i64_e64 s[24:25], 0, v[10:11]
	v_not_b32_e32 v10, v11
	v_ashrrev_i32_e32 v10, 31, v10
	;; [unrolled: 9-line block ×5, first 2 shown]
	v_xor_b32_e32 v11, s25, v10
	v_xor_b32_e32 v10, s24, v10
	v_and_b32_e32 v8, v8, v11
	v_lshlrev_b32_e32 v11, 24, v12
	v_and_b32_e32 v59, v59, v10
	v_mov_b32_e32 v10, v9
	v_not_b32_e32 v9, v11
	v_cmp_gt_i64_e64 s[24:25], 0, v[10:11]
	v_ashrrev_i32_e32 v9, 31, v9
	ds_read_b32 v26, v57 offset:64
	v_xor_b32_e32 v10, s25, v9
	v_xor_b32_e32 v11, s24, v9
	v_and_b32_e32 v9, v8, v10
	v_and_b32_e32 v8, v59, v11
	v_mbcnt_lo_u32_b32 v10, v8, 0
	v_mbcnt_hi_u32_b32 v59, v9, v10
	v_cmp_eq_u32_e64 s[24:25], 0, v59
	v_cmp_ne_u64_e64 s[26:27], 0, v[8:9]
	v_add_u32_e32 v58, 64, v7
	s_and_b64 s[26:27], s[26:27], s[24:25]
	; wave barrier
	s_and_saveexec_b64 s[24:25], s[26:27]
	s_cbranch_execz .LBB14_49
; %bb.48:
	v_bcnt_u32_b32 v8, v8, 0
	v_bcnt_u32_b32 v8, v9, v8
	s_waitcnt lgkmcnt(0)
	v_add_u32_e32 v8, v26, v8
	ds_write_b32 v57, v8 offset:64
.LBB14_49:
	s_or_b64 exec, exec, s[24:25]
	; wave barrier
	s_waitcnt lgkmcnt(0)
	s_barrier
	ds_read2_b32 v[10:11], v7 offset0:16 offset1:17
	ds_read2_b32 v[8:9], v58 offset0:2 offset1:3
	ds_read_b32 v12, v58 offset:16
	v_cmp_lt_u32_e64 s[34:35], 31, v4
	s_waitcnt lgkmcnt(1)
	v_add3_u32 v60, v11, v10, v8
	s_waitcnt lgkmcnt(0)
	v_add3_u32 v12, v60, v9, v12
	v_and_b32_e32 v60, 15, v4
	v_cmp_eq_u32_e64 s[24:25], 0, v60
	v_mov_b32_dpp v61, v12 row_shr:1 row_mask:0xf bank_mask:0xf
	v_cmp_lt_u32_e64 s[26:27], 1, v60
	v_cndmask_b32_e64 v61, v61, 0, s[24:25]
	v_add_u32_e32 v12, v61, v12
	v_cmp_lt_u32_e64 s[28:29], 3, v60
	v_cmp_lt_u32_e64 s[30:31], 7, v60
	v_mov_b32_dpp v61, v12 row_shr:2 row_mask:0xf bank_mask:0xf
	v_cndmask_b32_e64 v61, 0, v61, s[26:27]
	v_add_u32_e32 v12, v12, v61
	s_nop 1
	v_mov_b32_dpp v61, v12 row_shr:4 row_mask:0xf bank_mask:0xf
	v_cndmask_b32_e64 v61, 0, v61, s[28:29]
	v_add_u32_e32 v12, v12, v61
	s_nop 1
	v_mov_b32_dpp v61, v12 row_shr:8 row_mask:0xf bank_mask:0xf
	v_cndmask_b32_e64 v60, 0, v61, s[30:31]
	v_add_u32_e32 v12, v12, v60
	v_bfe_i32 v61, v4, 4, 1
	s_nop 0
	v_mov_b32_dpp v60, v12 row_bcast:15 row_mask:0xf bank_mask:0xf
	v_and_b32_e32 v60, v61, v60
	v_add_u32_e32 v12, v12, v60
	v_lshrrev_b32_e32 v61, 6, v2
	s_nop 0
	v_mov_b32_dpp v60, v12 row_bcast:31 row_mask:0xf bank_mask:0xf
	v_cndmask_b32_e64 v60, 0, v60, s[34:35]
	v_add_u32_e32 v60, v12, v60
	v_and_b32_e32 v12, 63, v2
	v_cmp_eq_u32_e64 s[34:35], 63, v12
	s_and_saveexec_b64 s[36:37], s[34:35]
	s_cbranch_execz .LBB14_51
; %bb.50:
	v_lshlrev_b32_e32 v12, 2, v61
	ds_write_b32 v12, v60
.LBB14_51:
	s_or_b64 exec, exec, s[36:37]
	v_cmp_gt_u32_e64 s[34:35], 16, v2
	v_lshlrev_b32_e32 v12, 2, v2
	s_waitcnt lgkmcnt(0)
	s_barrier
	s_and_saveexec_b64 s[36:37], s[34:35]
	s_cbranch_execz .LBB14_53
; %bb.52:
	ds_read_b32 v62, v12
	s_waitcnt lgkmcnt(0)
	s_nop 0
	v_mov_b32_dpp v63, v62 row_shr:1 row_mask:0xf bank_mask:0xf
	v_cndmask_b32_e64 v63, v63, 0, s[24:25]
	v_add_u32_e32 v62, v63, v62
	s_nop 1
	v_mov_b32_dpp v63, v62 row_shr:2 row_mask:0xf bank_mask:0xf
	v_cndmask_b32_e64 v63, 0, v63, s[26:27]
	v_add_u32_e32 v62, v62, v63
	;; [unrolled: 4-line block ×4, first 2 shown]
	ds_write_b32 v12, v62
.LBB14_53:
	s_or_b64 exec, exec, s[36:37]
	v_cmp_lt_u32_e64 s[24:25], 63, v2
	v_mov_b32_e32 v62, 0
	s_waitcnt lgkmcnt(0)
	s_barrier
	s_and_saveexec_b64 s[26:27], s[24:25]
	s_cbranch_execz .LBB14_55
; %bb.54:
	v_lshl_add_u32 v61, v61, 2, -4
	ds_read_b32 v62, v61
.LBB14_55:
	s_or_b64 exec, exec, s[26:27]
	v_add_u32_e32 v61, -1, v4
	v_and_b32_e32 v63, 64, v4
	v_cmp_lt_i32_e64 s[24:25], v61, v63
	s_waitcnt lgkmcnt(0)
	v_add_u32_e32 v60, v62, v60
	v_cndmask_b32_e64 v61, v61, v4, s[24:25]
	v_lshlrev_b32_e32 v61, 2, v61
	ds_bpermute_b32 v60, v61, v60
	v_cmp_eq_u32_e64 s[24:25], 0, v4
	s_waitcnt lgkmcnt(0)
	s_nop 0
	v_cndmask_b32_e64 v60, v60, v62, s[24:25]
	v_cmp_ne_u32_e64 s[24:25], 0, v2
	s_nop 1
	v_cndmask_b32_e64 v60, 0, v60, s[24:25]
	v_add_u32_e32 v10, v60, v10
	v_add_u32_e32 v11, v10, v11
	;; [unrolled: 1-line block ×4, first 2 shown]
	ds_write2_b32 v7, v60, v10 offset0:16 offset1:17
	ds_write2_b32 v58, v11, v8 offset0:2 offset1:3
	ds_write_b32 v58, v9 offset:16
	s_waitcnt lgkmcnt(0)
	s_barrier
	ds_read_b32 v9, v16 offset:64
	ds_read_b32 v11, v17 offset:64
	;; [unrolled: 1-line block ×12, first 2 shown]
	s_movk_i32 s24, 0x100
	v_cmp_gt_u32_e64 s[24:25], s24, v2
                                        ; implicit-def: $vgpr8
                                        ; implicit-def: $vgpr10
	s_and_saveexec_b64 s[28:29], s[24:25]
	s_cbranch_execz .LBB14_59
; %bb.56:
	v_mul_u32_u24_e32 v7, 17, v2
	v_lshlrev_b32_e32 v10, 2, v7
	ds_read_b32 v8, v10 offset:64
	s_movk_i32 s26, 0xff
	v_cmp_ne_u32_e64 s[26:27], s26, v2
	v_mov_b32_e32 v7, 0x3000
	s_and_saveexec_b64 s[30:31], s[26:27]
	s_cbranch_execz .LBB14_58
; %bb.57:
	ds_read_b32 v7, v10 offset:132
.LBB14_58:
	s_or_b64 exec, exec, s[30:31]
	s_waitcnt lgkmcnt(0)
	v_sub_u32_e32 v10, v7, v8
.LBB14_59:
	s_or_b64 exec, exec, s[28:29]
	s_waitcnt lgkmcnt(11)
	v_add_u32_e32 v9, v9, v14
	s_waitcnt lgkmcnt(10)
	v_add3_u32 v11, v19, v15, v11
	v_lshlrev_b32_e32 v14, 2, v9
	s_waitcnt lgkmcnt(9)
	v_add3_u32 v21, v24, v20, v16
	s_waitcnt lgkmcnt(0)
	s_barrier
	ds_write_b32 v14, v3 offset:2048
	v_lshlrev_b32_e32 v3, 2, v11
	v_add3_u32 v25, v30, v25, v17
	ds_write_b32 v3, v13 offset:2048
	v_lshlrev_b32_e32 v3, 2, v21
	v_add3_u32 v27, v35, v31, v22
	;; [unrolled: 3-line block ×9, first 2 shown]
	ds_write_b32 v3, v49 offset:2048
	v_lshlrev_b32_e32 v3, 2, v36
	v_mov_b32_e32 v7, v5
	ds_write_b32 v3, v52 offset:2048
	v_lshlrev_b32_e32 v3, 2, v37
	ds_write_b32 v3, v55 offset:2048
	s_waitcnt lgkmcnt(0)
	s_barrier
	s_and_saveexec_b64 s[28:29], s[24:25]
	s_cbranch_execz .LBB14_69
; %bb.60:
	v_lshl_or_b32 v16, s2, 8, v2
	v_mov_b32_e32 v17, 0
	v_lshl_add_u64 v[14:15], v[16:17], 2, s[72:73]
	v_or_b32_e32 v3, 2.0, v10
	global_store_dword v[14:15], v3, off sc1
	s_mov_b64 s[30:31], 0
	s_brev_b32 s38, 1
	s_mov_b32 s39, s2
	v_mov_b32_e32 v3, 0
                                        ; implicit-def: $sgpr26_sgpr27
	s_branch .LBB14_62
.LBB14_61:                              ;   in Loop: Header=BB14_62 Depth=1
	s_or_b64 exec, exec, s[34:35]
	v_and_b32_e32 v16, 0x3fffffff, v16
	v_add_u32_e32 v3, v16, v3
	v_cmp_eq_u32_e64 s[26:27], s38, v13
	s_and_b64 s[34:35], exec, s[26:27]
	s_or_b64 s[30:31], s[34:35], s[30:31]
	s_andn2_b64 exec, exec, s[30:31]
	s_cbranch_execz .LBB14_68
.LBB14_62:                              ; =>This Loop Header: Depth=1
                                        ;     Child Loop BB14_65 Depth 2
	s_or_b64 s[26:27], s[26:27], exec
	s_cmp_eq_u32 s39, 0
	s_cbranch_scc1 .LBB14_67
; %bb.63:                               ;   in Loop: Header=BB14_62 Depth=1
	s_add_i32 s39, s39, -1
	v_lshl_or_b32 v16, s39, 8, v2
	v_lshl_add_u64 v[18:19], v[16:17], 2, s[72:73]
	global_load_dword v16, v[18:19], off sc1
	s_waitcnt vmcnt(0)
	v_and_b32_e32 v13, -2.0, v16
	v_cmp_eq_u32_e64 s[26:27], 0, v13
	s_and_saveexec_b64 s[34:35], s[26:27]
	s_cbranch_execz .LBB14_61
; %bb.64:                               ;   in Loop: Header=BB14_62 Depth=1
	s_mov_b64 s[36:37], 0
.LBB14_65:                              ;   Parent Loop BB14_62 Depth=1
                                        ; =>  This Inner Loop Header: Depth=2
	global_load_dword v16, v[18:19], off sc1
	s_waitcnt vmcnt(0)
	v_and_b32_e32 v13, -2.0, v16
	v_cmp_ne_u32_e64 s[26:27], 0, v13
	s_or_b64 s[36:37], s[26:27], s[36:37]
	s_andn2_b64 exec, exec, s[36:37]
	s_cbranch_execnz .LBB14_65
; %bb.66:                               ;   in Loop: Header=BB14_62 Depth=1
	s_or_b64 exec, exec, s[36:37]
	s_branch .LBB14_61
.LBB14_67:                              ;   in Loop: Header=BB14_62 Depth=1
                                        ; implicit-def: $sgpr39
	s_and_b64 s[34:35], exec, s[26:27]
	s_or_b64 s[30:31], s[34:35], s[30:31]
	s_andn2_b64 exec, exec, s[30:31]
	s_cbranch_execnz .LBB14_62
.LBB14_68:
	s_or_b64 exec, exec, s[30:31]
	v_add_u32_e32 v13, v3, v10
	v_or_b32_e32 v13, 0x80000000, v13
	global_store_dword v[14:15], v13, off sc1
	v_lshlrev_b32_e32 v13, 3, v2
	global_load_dwordx2 v[14:15], v13, s[64:65]
	v_sub_co_u32_e64 v16, s[26:27], v3, v8
	s_nop 1
	v_subb_co_u32_e64 v17, s[26:27], 0, 0, s[26:27]
	s_waitcnt vmcnt(0)
	v_lshl_add_u64 v[14:15], v[16:17], 0, v[14:15]
	ds_write_b64 v13, v[14:15]
.LBB14_69:
	s_or_b64 exec, exec, s[28:29]
	v_cmp_gt_u32_e64 s[26:27], s55, v2
	s_waitcnt lgkmcnt(0)
	s_barrier
	s_and_saveexec_b64 s[28:29], s[26:27]
	s_cbranch_execz .LBB14_71
; %bb.70:
	ds_read_b32 v3, v12 offset:2048
	s_waitcnt lgkmcnt(0)
	v_lshrrev_b32_e32 v13, s68, v3
	v_and_b32_e32 v13, s33, v13
	v_lshlrev_b32_e32 v13, 3, v13
	ds_read_b64 v[14:15], v13
	v_mov_b32_e32 v13, 0
	v_xor_b32_e32 v3, 0x7fffffff, v3
	s_waitcnt lgkmcnt(0)
	v_lshl_add_u64 v[14:15], v[14:15], 2, s[58:59]
	v_lshl_add_u64 v[14:15], v[14:15], 0, v[12:13]
	global_store_dword v[14:15], v3, off
.LBB14_71:
	s_or_b64 exec, exec, s[28:29]
	v_or_b32_e32 v3, 0x400, v2
	v_cmp_gt_u32_e64 s[28:29], s55, v3
	s_and_saveexec_b64 s[30:31], s[28:29]
	s_cbranch_execz .LBB14_73
; %bb.72:
	ds_read_b32 v13, v12 offset:6144
	v_lshlrev_b32_e32 v16, 2, v3
	v_mov_b32_e32 v17, 0
	s_waitcnt lgkmcnt(0)
	v_lshrrev_b32_e32 v14, s68, v13
	v_and_b32_e32 v14, s33, v14
	v_lshlrev_b32_e32 v14, 3, v14
	ds_read_b64 v[14:15], v14
	v_xor_b32_e32 v3, 0x7fffffff, v13
	s_waitcnt lgkmcnt(0)
	v_lshl_add_u64 v[14:15], v[14:15], 2, s[58:59]
	v_lshl_add_u64 v[14:15], v[14:15], 0, v[16:17]
	global_store_dword v[14:15], v3, off
.LBB14_73:
	s_or_b64 exec, exec, s[30:31]
	v_or_b32_e32 v3, 0x800, v2
	v_cmp_gt_u32_e64 s[30:31], s55, v3
	s_and_saveexec_b64 s[34:35], s[30:31]
	s_cbranch_execz .LBB14_75
; %bb.74:
	ds_read_b32 v13, v12 offset:10240
	v_lshlrev_b32_e32 v16, 2, v3
	v_mov_b32_e32 v17, 0
	s_waitcnt lgkmcnt(0)
	v_lshrrev_b32_e32 v14, s68, v13
	v_and_b32_e32 v14, s33, v14
	v_lshlrev_b32_e32 v14, 3, v14
	ds_read_b64 v[14:15], v14
	v_xor_b32_e32 v3, 0x7fffffff, v13
	s_waitcnt lgkmcnt(0)
	v_lshl_add_u64 v[14:15], v[14:15], 2, s[58:59]
	v_lshl_add_u64 v[14:15], v[14:15], 0, v[16:17]
	global_store_dword v[14:15], v3, off
.LBB14_75:
	;; [unrolled: 20-line block ×11, first 2 shown]
	s_or_b64 exec, exec, s[70:71]
	s_add_u32 s70, s60, s54
	s_addc_u32 s71, s61, 0
	v_lshl_add_u64 v[4:5], s[70:71], 0, v[4:5]
	v_lshl_add_u64 v[4:5], v[4:5], 0, v[6:7]
                                        ; implicit-def: $vgpr3
	s_and_saveexec_b64 s[70:71], vcc
	s_xor_b64 s[70:71], exec, s[70:71]
	s_cbranch_execnz .LBB14_188
; %bb.94:
	s_or_b64 exec, exec, s[70:71]
                                        ; implicit-def: $vgpr6
	s_and_saveexec_b64 s[70:71], s[52:53]
	s_cbranch_execnz .LBB14_189
.LBB14_95:
	s_or_b64 exec, exec, s[70:71]
                                        ; implicit-def: $vgpr7
	s_and_saveexec_b64 s[52:53], s[4:5]
	s_cbranch_execnz .LBB14_190
.LBB14_96:
	s_or_b64 exec, exec, s[52:53]
                                        ; implicit-def: $vgpr13
	s_and_saveexec_b64 s[4:5], s[6:7]
	s_cbranch_execnz .LBB14_191
.LBB14_97:
	s_or_b64 exec, exec, s[4:5]
                                        ; implicit-def: $vgpr15
	s_and_saveexec_b64 s[4:5], s[8:9]
	s_cbranch_execnz .LBB14_192
.LBB14_98:
	s_or_b64 exec, exec, s[4:5]
                                        ; implicit-def: $vgpr17
	s_and_saveexec_b64 s[4:5], s[10:11]
	s_cbranch_execnz .LBB14_193
.LBB14_99:
	s_or_b64 exec, exec, s[4:5]
                                        ; implicit-def: $vgpr19
	s_and_saveexec_b64 s[4:5], s[12:13]
	s_cbranch_execnz .LBB14_194
.LBB14_100:
	s_or_b64 exec, exec, s[4:5]
                                        ; implicit-def: $vgpr23
	s_and_saveexec_b64 s[4:5], s[14:15]
	s_cbranch_execnz .LBB14_195
.LBB14_101:
	s_or_b64 exec, exec, s[4:5]
                                        ; implicit-def: $vgpr38
	s_and_saveexec_b64 s[4:5], s[16:17]
	s_cbranch_execnz .LBB14_196
.LBB14_102:
	s_or_b64 exec, exec, s[4:5]
                                        ; implicit-def: $vgpr41
	s_and_saveexec_b64 s[4:5], s[18:19]
	s_cbranch_execnz .LBB14_197
.LBB14_103:
	s_or_b64 exec, exec, s[4:5]
                                        ; implicit-def: $vgpr44
	s_and_saveexec_b64 s[4:5], s[20:21]
	s_cbranch_execnz .LBB14_198
.LBB14_104:
	s_or_b64 exec, exec, s[4:5]
                                        ; implicit-def: $vgpr48
	s_and_saveexec_b64 s[4:5], s[22:23]
	s_cbranch_execnz .LBB14_199
.LBB14_105:
	s_or_b64 exec, exec, s[4:5]
                                        ; implicit-def: $vgpr49
	s_and_saveexec_b64 s[4:5], s[26:27]
	s_cbranch_execnz .LBB14_200
.LBB14_106:
	s_or_b64 exec, exec, s[4:5]
                                        ; implicit-def: $vgpr47
	s_and_saveexec_b64 s[4:5], s[28:29]
	s_cbranch_execnz .LBB14_201
.LBB14_107:
	s_or_b64 exec, exec, s[4:5]
                                        ; implicit-def: $vgpr46
	s_and_saveexec_b64 s[4:5], s[30:31]
	s_cbranch_execnz .LBB14_202
.LBB14_108:
	s_or_b64 exec, exec, s[4:5]
                                        ; implicit-def: $vgpr45
	s_and_saveexec_b64 s[4:5], s[34:35]
	s_cbranch_execnz .LBB14_203
.LBB14_109:
	s_or_b64 exec, exec, s[4:5]
                                        ; implicit-def: $vgpr43
	s_and_saveexec_b64 s[4:5], s[36:37]
	s_cbranch_execnz .LBB14_204
.LBB14_110:
	s_or_b64 exec, exec, s[4:5]
                                        ; implicit-def: $vgpr42
	s_and_saveexec_b64 s[4:5], s[38:39]
	s_cbranch_execnz .LBB14_205
.LBB14_111:
	s_or_b64 exec, exec, s[4:5]
                                        ; implicit-def: $vgpr40
	s_and_saveexec_b64 s[4:5], s[40:41]
	s_cbranch_execnz .LBB14_206
.LBB14_112:
	s_or_b64 exec, exec, s[4:5]
                                        ; implicit-def: $vgpr39
	s_and_saveexec_b64 s[4:5], s[42:43]
	s_cbranch_execnz .LBB14_207
.LBB14_113:
	s_or_b64 exec, exec, s[4:5]
                                        ; implicit-def: $vgpr34
	s_and_saveexec_b64 s[4:5], s[44:45]
	s_cbranch_execz .LBB14_115
.LBB14_114:
	ds_read_b32 v4, v12 offset:34816
	s_waitcnt lgkmcnt(0)
	v_lshrrev_b32_e32 v4, s68, v4
	v_and_b32_e32 v34, s33, v4
.LBB14_115:
	s_or_b64 exec, exec, s[4:5]
	v_mov_b32_e32 v4, 0
	v_mov_b32_e32 v29, 0
	s_and_saveexec_b64 s[4:5], s[46:47]
	s_cbranch_execnz .LBB14_208
; %bb.116:
	s_or_b64 exec, exec, s[4:5]
	s_and_saveexec_b64 s[4:5], s[48:49]
	s_cbranch_execnz .LBB14_209
.LBB14_117:
	s_or_b64 exec, exec, s[4:5]
	v_mov_b32_e32 v5, 0
	s_and_saveexec_b64 s[4:5], s[50:51]
	s_cbranch_execz .LBB14_119
.LBB14_118:
	ds_read_b32 v5, v12 offset:47104
	s_waitcnt lgkmcnt(0)
	v_lshrrev_b32_e32 v5, s68, v5
	v_and_b32_e32 v5, s33, v5
.LBB14_119:
	s_or_b64 exec, exec, s[4:5]
	s_barrier
	s_waitcnt vmcnt(0)
	ds_write_b8 v9, v3 offset:2048
	ds_write_b8 v11, v6 offset:2048
	;; [unrolled: 1-line block ×12, first 2 shown]
	s_waitcnt lgkmcnt(0)
	s_barrier
	s_and_saveexec_b64 s[4:5], s[26:27]
	s_cbranch_execnz .LBB14_210
; %bb.120:
	s_or_b64 exec, exec, s[4:5]
	s_and_saveexec_b64 s[4:5], s[28:29]
	s_cbranch_execnz .LBB14_211
.LBB14_121:
	s_or_b64 exec, exec, s[4:5]
	s_and_saveexec_b64 s[4:5], s[30:31]
	s_cbranch_execnz .LBB14_212
.LBB14_122:
	s_or_b64 exec, exec, s[4:5]
	s_and_saveexec_b64 s[4:5], s[34:35]
	s_cbranch_execnz .LBB14_213
.LBB14_123:
	s_or_b64 exec, exec, s[4:5]
	s_and_saveexec_b64 s[4:5], s[36:37]
	s_cbranch_execnz .LBB14_214
.LBB14_124:
	s_or_b64 exec, exec, s[4:5]
	s_and_saveexec_b64 s[4:5], s[38:39]
	s_cbranch_execnz .LBB14_215
.LBB14_125:
	s_or_b64 exec, exec, s[4:5]
	s_and_saveexec_b64 s[4:5], s[40:41]
	s_cbranch_execnz .LBB14_216
.LBB14_126:
	s_or_b64 exec, exec, s[4:5]
	s_and_saveexec_b64 s[4:5], s[42:43]
	s_cbranch_execnz .LBB14_217
.LBB14_127:
	s_or_b64 exec, exec, s[4:5]
	s_and_saveexec_b64 s[4:5], s[44:45]
	s_cbranch_execnz .LBB14_218
.LBB14_128:
	s_or_b64 exec, exec, s[4:5]
	s_and_saveexec_b64 s[4:5], s[46:47]
	s_cbranch_execnz .LBB14_219
.LBB14_129:
	s_or_b64 exec, exec, s[4:5]
	s_and_saveexec_b64 s[4:5], s[48:49]
	s_cbranch_execnz .LBB14_220
.LBB14_130:
	s_or_b64 exec, exec, s[4:5]
	s_and_saveexec_b64 s[4:5], s[50:51]
	s_cbranch_execz .LBB14_132
.LBB14_131:
	v_lshlrev_b32_e32 v3, 3, v5
	ds_read_b64 v[4:5], v3
	ds_read_u8 v3, v2 offset:13312
	v_mov_b32_e32 v29, 0
	s_waitcnt lgkmcnt(1)
	v_lshl_add_u64 v[4:5], s[62:63], 0, v[4:5]
	v_lshl_add_u64 v[4:5], v[4:5], 0, v[28:29]
	s_waitcnt lgkmcnt(0)
	global_store_byte v[4:5], v3, off
.LBB14_132:
	s_or_b64 exec, exec, s[4:5]
	s_add_i32 s3, s3, -1
	s_cmp_eq_u32 s2, s3
	s_cselect_b64 s[4:5], -1, 0
	s_and_b64 s[6:7], s[24:25], s[4:5]
	s_mov_b64 s[4:5], 0
	s_mov_b64 s[10:11], 0
                                        ; implicit-def: $vgpr4_vgpr5
	s_and_saveexec_b64 s[8:9], s[6:7]
	s_xor_b64 s[6:7], exec, s[8:9]
; %bb.133:
	v_mov_b32_e32 v9, 0
	v_mov_b32_e32 v11, v9
	s_mov_b64 s[10:11], exec
	v_lshl_add_u64 v[4:5], v[8:9], 0, v[10:11]
	v_mov_b32_e32 v3, v9
; %bb.134:
	s_or_b64 exec, exec, s[6:7]
	s_and_b64 vcc, exec, s[4:5]
	s_cbranch_vccnz .LBB14_136
	s_branch .LBB14_185
.LBB14_135:
	s_mov_b64 s[10:11], 0
                                        ; implicit-def: $vgpr4_vgpr5
                                        ; implicit-def: $vgpr2_vgpr3
	s_cbranch_execz .LBB14_185
.LBB14_136:
	s_mov_b32 s55, 0
	s_lshl_b64 s[4:5], s[54:55], 2
	s_add_u32 s4, s56, s4
	v_mov_b32_e32 v5, 0
	v_mbcnt_hi_u32_b32 v4, -1, v1
	s_addc_u32 s5, s57, s5
	v_lshlrev_b32_e32 v8, 2, v4
	v_mov_b32_e32 v9, v5
	v_lshl_add_u64 v[8:9], s[4:5], 0, v[8:9]
	s_load_dword s4, s[0:1], 0x5c
	s_load_dword s3, s[0:1], 0x50
	v_and_b32_e32 v2, 0x3ff, v0
	v_and_b32_e32 v1, 0x3c0, v2
	v_mul_u32_u24_e32 v6, 12, v1
	v_lshlrev_b32_e32 v10, 2, v6
	v_mov_b32_e32 v11, v5
	s_add_u32 s0, s0, 0x50
	v_lshl_add_u64 v[10:11], v[8:9], 0, v[10:11]
	s_addc_u32 s1, s1, 0
	s_waitcnt lgkmcnt(0)
	s_lshr_b32 s4, s4, 16
	global_load_dword v3, v[10:11], off
	s_cmp_lt_u32 s2, s3
	s_cselect_b32 s5, 12, 18
	s_add_u32 s0, s0, s5
	s_addc_u32 s1, s1, 0
	global_load_ushort v18, v5, s[0:1]
	v_mul_u32_u24_e32 v7, 5, v2
	v_lshlrev_b32_e32 v7, 2, v7
	ds_write2_b32 v7, v5, v5 offset0:16 offset1:17
	ds_write2_b32 v7, v5, v5 offset0:18 offset1:19
	ds_write_b32 v7, v5 offset:80
	global_load_dword v9, v[10:11], off offset:256
	global_load_dword v8, v[10:11], off offset:512
	;; [unrolled: 1-line block ×11, first 2 shown]
	v_bfe_u32 v13, v0, 10, 10
	v_bfe_u32 v0, v0, 20, 10
	s_lshl_b32 s0, -1, s69
	v_mad_u32_u24 v10, v0, s4, v13
	s_not_b32 s14, s0
	v_mov_b32_e32 v1, v5
	v_mov_b32_e32 v12, v5
	;; [unrolled: 1-line block ×5, first 2 shown]
	s_waitcnt lgkmcnt(0)
	s_barrier
	s_waitcnt lgkmcnt(0)
	; wave barrier
	s_waitcnt vmcnt(12)
	v_xor_b32_e32 v3, 0x7fffffff, v3
	v_lshrrev_b32_e32 v0, s68, v3
	v_and_b32_e32 v24, s14, v0
	v_and_b32_e32 v0, 1, v24
	v_lshlrev_b32_e32 v13, 30, v24
	v_lshlrev_b32_e32 v15, 29, v24
	s_waitcnt vmcnt(11)
	v_mad_u64_u32 v[10:11], s[0:1], v10, v18, v[2:3]
	v_lshl_add_u64 v[28:29], v[0:1], 0, -1
	v_cmp_ne_u32_e32 vcc, 0, v0
	v_not_b32_e32 v0, v13
	v_lshlrev_b32_e32 v17, 28, v24
	v_cmp_gt_i64_e64 s[0:1], 0, v[12:13]
	v_not_b32_e32 v1, v15
	v_lshrrev_b32_e32 v20, 6, v10
	v_xor_b32_e32 v10, vcc_hi, v29
	v_ashrrev_i32_e32 v0, 31, v0
	v_cmp_gt_i64_e64 s[4:5], 0, v[14:15]
	v_not_b32_e32 v11, v17
	v_xor_b32_e32 v13, vcc_lo, v28
	v_ashrrev_i32_e32 v1, 31, v1
	v_and_b32_e32 v10, exec_hi, v10
	v_xor_b32_e32 v14, s1, v0
	v_cmp_gt_i64_e64 s[6:7], 0, v[16:17]
	v_ashrrev_i32_e32 v11, 31, v11
	v_and_b32_e32 v13, exec_lo, v13
	v_xor_b32_e32 v0, s0, v0
	v_xor_b32_e32 v15, s5, v1
	v_and_b32_e32 v10, v10, v14
	v_lshlrev_b32_e32 v23, 27, v24
	v_xor_b32_e32 v1, s4, v1
	v_xor_b32_e32 v16, s7, v11
	v_and_b32_e32 v0, v13, v0
	v_and_b32_e32 v10, v10, v15
	;; [unrolled: 1-line block ×4, first 2 shown]
	v_not_b32_e32 v10, v23
	v_cmp_gt_i64_e64 s[8:9], 0, v[22:23]
	v_xor_b32_e32 v11, s6, v11
	v_ashrrev_i32_e32 v10, 31, v10
	v_and_b32_e32 v0, v0, v11
	v_xor_b32_e32 v11, s9, v10
	v_xor_b32_e32 v10, s8, v10
	v_and_b32_e32 v11, v1, v11
	v_and_b32_e32 v10, v0, v10
	v_lshlrev_b32_e32 v1, 26, v24
	v_mov_b32_e32 v0, v5
	v_cmp_gt_i64_e32 vcc, 0, v[0:1]
	v_not_b32_e32 v0, v1
	v_ashrrev_i32_e32 v0, 31, v0
	v_xor_b32_e32 v1, vcc_hi, v0
	v_xor_b32_e32 v0, vcc_lo, v0
	v_and_b32_e32 v11, v11, v1
	v_and_b32_e32 v10, v10, v0
	v_lshlrev_b32_e32 v1, 25, v24
	v_mov_b32_e32 v0, v5
	v_cmp_gt_i64_e32 vcc, 0, v[0:1]
	v_not_b32_e32 v0, v1
	v_ashrrev_i32_e32 v0, 31, v0
	v_xor_b32_e32 v1, vcc_hi, v0
	v_xor_b32_e32 v0, vcc_lo, v0
	v_and_b32_e32 v11, v11, v1
	v_and_b32_e32 v10, v10, v0
	v_lshlrev_b32_e32 v1, 24, v24
	v_mov_b32_e32 v0, v5
	v_cmp_gt_i64_e32 vcc, 0, v[0:1]
	v_not_b32_e32 v0, v1
	v_ashrrev_i32_e32 v0, 31, v0
	v_xor_b32_e32 v1, vcc_hi, v0
	v_xor_b32_e32 v0, vcc_lo, v0
	v_and_b32_e32 v0, v10, v0
	v_and_b32_e32 v1, v11, v1
	v_mbcnt_lo_u32_b32 v10, v0, 0
	v_mbcnt_hi_u32_b32 v11, v1, v10
	v_lshl_add_u32 v27, v24, 4, v24
	v_cmp_eq_u32_e32 vcc, 0, v11
	v_cmp_ne_u64_e64 s[0:1], 0, v[0:1]
	v_add_lshl_u32 v12, v20, v27, 2
	s_and_b64 s[4:5], s[0:1], vcc
	s_and_saveexec_b64 s[0:1], s[4:5]
	s_cbranch_execz .LBB14_138
; %bb.137:
	v_bcnt_u32_b32 v0, v0, 0
	v_bcnt_u32_b32 v0, v1, v0
	ds_write_b32 v12, v0 offset:64
.LBB14_138:
	s_or_b64 exec, exec, s[0:1]
	s_waitcnt vmcnt(10)
	v_xor_b32_e32 v10, 0x7fffffff, v9
	v_lshrrev_b32_e32 v0, s68, v10
	v_and_b32_e32 v9, s14, v0
	v_lshl_add_u32 v0, v9, 4, v9
	v_add_lshl_u32 v14, v20, v0, 2
	v_and_b32_e32 v0, 1, v9
	v_mov_b32_e32 v1, v5
	v_lshl_add_u64 v[16:17], v[0:1], 0, -1
	v_cmp_ne_u32_e32 vcc, 0, v0
	; wave barrier
	s_nop 1
	v_xor_b32_e32 v0, vcc_hi, v17
	v_xor_b32_e32 v1, vcc_lo, v16
	v_and_b32_e32 v15, exec_hi, v0
	v_and_b32_e32 v16, exec_lo, v1
	v_lshlrev_b32_e32 v1, 30, v9
	v_mov_b32_e32 v0, v5
	v_cmp_gt_i64_e32 vcc, 0, v[0:1]
	v_not_b32_e32 v0, v1
	v_ashrrev_i32_e32 v0, 31, v0
	v_xor_b32_e32 v1, vcc_hi, v0
	v_xor_b32_e32 v0, vcc_lo, v0
	v_and_b32_e32 v15, v15, v1
	v_and_b32_e32 v16, v16, v0
	v_lshlrev_b32_e32 v1, 29, v9
	v_mov_b32_e32 v0, v5
	v_cmp_gt_i64_e32 vcc, 0, v[0:1]
	v_not_b32_e32 v0, v1
	v_ashrrev_i32_e32 v0, 31, v0
	v_xor_b32_e32 v1, vcc_hi, v0
	v_xor_b32_e32 v0, vcc_lo, v0
	v_and_b32_e32 v15, v15, v1
	v_and_b32_e32 v16, v16, v0
	;; [unrolled: 9-line block ×6, first 2 shown]
	v_lshlrev_b32_e32 v1, 24, v9
	v_mov_b32_e32 v0, v5
	v_cmp_gt_i64_e32 vcc, 0, v[0:1]
	v_not_b32_e32 v0, v1
	v_ashrrev_i32_e32 v0, 31, v0
	v_xor_b32_e32 v1, vcc_hi, v0
	v_xor_b32_e32 v0, vcc_lo, v0
	ds_read_b32 v13, v14 offset:64
	v_and_b32_e32 v0, v16, v0
	v_and_b32_e32 v1, v15, v1
	v_mbcnt_lo_u32_b32 v9, v0, 0
	v_mbcnt_hi_u32_b32 v16, v1, v9
	v_cmp_eq_u32_e32 vcc, 0, v16
	v_cmp_ne_u64_e64 s[0:1], 0, v[0:1]
	s_and_b64 s[4:5], s[0:1], vcc
	; wave barrier
	s_and_saveexec_b64 s[0:1], s[4:5]
	s_cbranch_execz .LBB14_140
; %bb.139:
	v_bcnt_u32_b32 v0, v0, 0
	v_bcnt_u32_b32 v0, v1, v0
	s_waitcnt lgkmcnt(0)
	v_add_u32_e32 v0, v13, v0
	ds_write_b32 v14, v0 offset:64
.LBB14_140:
	s_or_b64 exec, exec, s[0:1]
	s_waitcnt vmcnt(9)
	v_xor_b32_e32 v15, 0x7fffffff, v8
	v_lshrrev_b32_e32 v0, s68, v15
	v_and_b32_e32 v22, s14, v0
	v_lshl_add_u32 v0, v22, 4, v22
	v_add_lshl_u32 v18, v20, v0, 2
	v_and_b32_e32 v0, 1, v22
	v_mov_b32_e32 v1, 0
	v_lshl_add_u64 v[8:9], v[0:1], 0, -1
	v_cmp_ne_u32_e32 vcc, 0, v0
	; wave barrier
	s_nop 1
	v_xor_b32_e32 v8, vcc_lo, v8
	v_xor_b32_e32 v0, vcc_hi, v9
	v_and_b32_e32 v23, exec_lo, v8
	v_lshlrev_b32_e32 v9, 30, v22
	v_mov_b32_e32 v8, v1
	v_cmp_gt_i64_e32 vcc, 0, v[8:9]
	v_not_b32_e32 v8, v9
	v_ashrrev_i32_e32 v8, 31, v8
	v_and_b32_e32 v0, exec_hi, v0
	v_xor_b32_e32 v9, vcc_hi, v8
	v_xor_b32_e32 v8, vcc_lo, v8
	v_and_b32_e32 v0, v0, v9
	v_and_b32_e32 v23, v23, v8
	v_lshlrev_b32_e32 v9, 29, v22
	v_mov_b32_e32 v8, v1
	v_cmp_gt_i64_e32 vcc, 0, v[8:9]
	v_not_b32_e32 v8, v9
	v_ashrrev_i32_e32 v8, 31, v8
	v_xor_b32_e32 v9, vcc_hi, v8
	v_xor_b32_e32 v8, vcc_lo, v8
	v_and_b32_e32 v0, v0, v9
	v_and_b32_e32 v23, v23, v8
	v_lshlrev_b32_e32 v9, 28, v22
	v_mov_b32_e32 v8, v1
	v_cmp_gt_i64_e32 vcc, 0, v[8:9]
	v_not_b32_e32 v8, v9
	v_ashrrev_i32_e32 v8, 31, v8
	;; [unrolled: 9-line block ×6, first 2 shown]
	v_xor_b32_e32 v9, vcc_hi, v8
	v_xor_b32_e32 v8, vcc_lo, v8
	ds_read_b32 v17, v18 offset:64
	v_and_b32_e32 v8, v23, v8
	v_and_b32_e32 v9, v0, v9
	v_mbcnt_lo_u32_b32 v0, v8, 0
	v_mbcnt_hi_u32_b32 v22, v9, v0
	v_cmp_eq_u32_e32 vcc, 0, v22
	v_cmp_ne_u64_e64 s[0:1], 0, v[8:9]
	s_and_b64 s[4:5], s[0:1], vcc
	; wave barrier
	s_and_saveexec_b64 s[0:1], s[4:5]
	s_cbranch_execz .LBB14_142
; %bb.141:
	v_bcnt_u32_b32 v0, v8, 0
	v_bcnt_u32_b32 v0, v9, v0
	s_waitcnt lgkmcnt(0)
	v_add_u32_e32 v0, v17, v0
	ds_write_b32 v18, v0 offset:64
.LBB14_142:
	s_or_b64 exec, exec, s[0:1]
	s_waitcnt vmcnt(8)
	v_xor_b32_e32 v21, 0x7fffffff, v21
	v_lshrrev_b32_e32 v0, s68, v21
	v_and_b32_e32 v27, s14, v0
	v_lshl_add_u32 v0, v27, 4, v27
	v_add_lshl_u32 v24, v20, v0, 2
	v_and_b32_e32 v0, 1, v27
	v_lshl_add_u64 v[8:9], v[0:1], 0, -1
	v_cmp_ne_u32_e32 vcc, 0, v0
	; wave barrier
	s_nop 1
	v_xor_b32_e32 v8, vcc_lo, v8
	v_xor_b32_e32 v0, vcc_hi, v9
	v_and_b32_e32 v28, exec_lo, v8
	v_lshlrev_b32_e32 v9, 30, v27
	v_mov_b32_e32 v8, v1
	v_cmp_gt_i64_e32 vcc, 0, v[8:9]
	v_not_b32_e32 v8, v9
	v_ashrrev_i32_e32 v8, 31, v8
	v_and_b32_e32 v0, exec_hi, v0
	v_xor_b32_e32 v9, vcc_hi, v8
	v_xor_b32_e32 v8, vcc_lo, v8
	v_and_b32_e32 v0, v0, v9
	v_and_b32_e32 v28, v28, v8
	v_lshlrev_b32_e32 v9, 29, v27
	v_mov_b32_e32 v8, v1
	v_cmp_gt_i64_e32 vcc, 0, v[8:9]
	v_not_b32_e32 v8, v9
	v_ashrrev_i32_e32 v8, 31, v8
	v_xor_b32_e32 v9, vcc_hi, v8
	v_xor_b32_e32 v8, vcc_lo, v8
	v_and_b32_e32 v0, v0, v9
	v_and_b32_e32 v28, v28, v8
	v_lshlrev_b32_e32 v9, 28, v27
	v_mov_b32_e32 v8, v1
	v_cmp_gt_i64_e32 vcc, 0, v[8:9]
	v_not_b32_e32 v8, v9
	v_ashrrev_i32_e32 v8, 31, v8
	;; [unrolled: 9-line block ×5, first 2 shown]
	v_xor_b32_e32 v9, vcc_hi, v8
	v_xor_b32_e32 v8, vcc_lo, v8
	v_and_b32_e32 v0, v0, v9
	v_lshlrev_b32_e32 v9, 24, v27
	v_and_b32_e32 v28, v28, v8
	v_mov_b32_e32 v8, v1
	v_not_b32_e32 v1, v9
	v_cmp_gt_i64_e32 vcc, 0, v[8:9]
	v_ashrrev_i32_e32 v1, 31, v1
	ds_read_b32 v23, v24 offset:64
	v_xor_b32_e32 v8, vcc_hi, v1
	v_xor_b32_e32 v9, vcc_lo, v1
	v_and_b32_e32 v1, v0, v8
	v_and_b32_e32 v0, v28, v9
	v_mbcnt_lo_u32_b32 v8, v0, 0
	v_mbcnt_hi_u32_b32 v27, v1, v8
	v_cmp_eq_u32_e32 vcc, 0, v27
	v_cmp_ne_u64_e64 s[0:1], 0, v[0:1]
	s_and_b64 s[4:5], s[0:1], vcc
	; wave barrier
	s_and_saveexec_b64 s[0:1], s[4:5]
	s_cbranch_execz .LBB14_144
; %bb.143:
	v_bcnt_u32_b32 v0, v0, 0
	v_bcnt_u32_b32 v0, v1, v0
	s_waitcnt lgkmcnt(0)
	v_add_u32_e32 v0, v23, v0
	ds_write_b32 v24, v0 offset:64
.LBB14_144:
	s_or_b64 exec, exec, s[0:1]
	s_waitcnt vmcnt(7)
	v_xor_b32_e32 v26, 0x7fffffff, v26
	v_lshrrev_b32_e32 v0, s68, v26
	v_and_b32_e32 v32, s14, v0
	v_lshl_add_u32 v0, v32, 4, v32
	v_add_lshl_u32 v29, v20, v0, 2
	v_and_b32_e32 v0, 1, v32
	v_mov_b32_e32 v1, 0
	v_lshl_add_u64 v[8:9], v[0:1], 0, -1
	v_cmp_ne_u32_e32 vcc, 0, v0
	; wave barrier
	s_nop 1
	v_xor_b32_e32 v8, vcc_lo, v8
	v_xor_b32_e32 v0, vcc_hi, v9
	v_and_b32_e32 v33, exec_lo, v8
	v_lshlrev_b32_e32 v9, 30, v32
	v_mov_b32_e32 v8, v1
	v_cmp_gt_i64_e32 vcc, 0, v[8:9]
	v_not_b32_e32 v8, v9
	v_ashrrev_i32_e32 v8, 31, v8
	v_and_b32_e32 v0, exec_hi, v0
	v_xor_b32_e32 v9, vcc_hi, v8
	v_xor_b32_e32 v8, vcc_lo, v8
	v_and_b32_e32 v0, v0, v9
	v_and_b32_e32 v33, v33, v8
	v_lshlrev_b32_e32 v9, 29, v32
	v_mov_b32_e32 v8, v1
	v_cmp_gt_i64_e32 vcc, 0, v[8:9]
	v_not_b32_e32 v8, v9
	v_ashrrev_i32_e32 v8, 31, v8
	v_xor_b32_e32 v9, vcc_hi, v8
	v_xor_b32_e32 v8, vcc_lo, v8
	v_and_b32_e32 v0, v0, v9
	v_and_b32_e32 v33, v33, v8
	v_lshlrev_b32_e32 v9, 28, v32
	v_mov_b32_e32 v8, v1
	v_cmp_gt_i64_e32 vcc, 0, v[8:9]
	v_not_b32_e32 v8, v9
	v_ashrrev_i32_e32 v8, 31, v8
	v_xor_b32_e32 v9, vcc_hi, v8
	v_xor_b32_e32 v8, vcc_lo, v8
	v_and_b32_e32 v0, v0, v9
	v_and_b32_e32 v33, v33, v8
	v_lshlrev_b32_e32 v9, 27, v32
	v_mov_b32_e32 v8, v1
	v_cmp_gt_i64_e32 vcc, 0, v[8:9]
	v_not_b32_e32 v8, v9
	v_ashrrev_i32_e32 v8, 31, v8
	v_xor_b32_e32 v9, vcc_hi, v8
	v_xor_b32_e32 v8, vcc_lo, v8
	v_and_b32_e32 v0, v0, v9
	v_and_b32_e32 v33, v33, v8
	v_lshlrev_b32_e32 v9, 26, v32
	v_mov_b32_e32 v8, v1
	v_cmp_gt_i64_e32 vcc, 0, v[8:9]
	v_not_b32_e32 v8, v9
	v_ashrrev_i32_e32 v8, 31, v8
	v_xor_b32_e32 v9, vcc_hi, v8
	v_xor_b32_e32 v8, vcc_lo, v8
	v_and_b32_e32 v0, v0, v9
	v_and_b32_e32 v33, v33, v8
	v_lshlrev_b32_e32 v9, 25, v32
	v_mov_b32_e32 v8, v1
	v_cmp_gt_i64_e32 vcc, 0, v[8:9]
	v_not_b32_e32 v8, v9
	v_ashrrev_i32_e32 v8, 31, v8
	v_xor_b32_e32 v9, vcc_hi, v8
	v_xor_b32_e32 v8, vcc_lo, v8
	v_and_b32_e32 v0, v0, v9
	v_and_b32_e32 v33, v33, v8
	v_lshlrev_b32_e32 v9, 24, v32
	v_mov_b32_e32 v8, v1
	v_cmp_gt_i64_e32 vcc, 0, v[8:9]
	v_not_b32_e32 v8, v9
	v_ashrrev_i32_e32 v8, 31, v8
	v_xor_b32_e32 v9, vcc_hi, v8
	v_xor_b32_e32 v8, vcc_lo, v8
	ds_read_b32 v28, v29 offset:64
	v_and_b32_e32 v8, v33, v8
	v_and_b32_e32 v9, v0, v9
	v_mbcnt_lo_u32_b32 v0, v8, 0
	v_mbcnt_hi_u32_b32 v32, v9, v0
	v_cmp_eq_u32_e32 vcc, 0, v32
	v_cmp_ne_u64_e64 s[0:1], 0, v[8:9]
	s_and_b64 s[4:5], s[0:1], vcc
	; wave barrier
	s_and_saveexec_b64 s[0:1], s[4:5]
	s_cbranch_execz .LBB14_146
; %bb.145:
	v_bcnt_u32_b32 v0, v8, 0
	v_bcnt_u32_b32 v0, v9, v0
	s_waitcnt lgkmcnt(0)
	v_add_u32_e32 v0, v28, v0
	ds_write_b32 v29, v0 offset:64
.LBB14_146:
	s_or_b64 exec, exec, s[0:1]
	s_waitcnt vmcnt(6)
	v_xor_b32_e32 v31, 0x7fffffff, v31
	v_lshrrev_b32_e32 v0, s68, v31
	v_and_b32_e32 v37, s14, v0
	v_lshl_add_u32 v0, v37, 4, v37
	v_add_lshl_u32 v34, v20, v0, 2
	v_and_b32_e32 v0, 1, v37
	v_lshl_add_u64 v[8:9], v[0:1], 0, -1
	v_cmp_ne_u32_e32 vcc, 0, v0
	; wave barrier
	s_nop 1
	v_xor_b32_e32 v8, vcc_lo, v8
	v_xor_b32_e32 v0, vcc_hi, v9
	v_and_b32_e32 v38, exec_lo, v8
	v_lshlrev_b32_e32 v9, 30, v37
	v_mov_b32_e32 v8, v1
	v_cmp_gt_i64_e32 vcc, 0, v[8:9]
	v_not_b32_e32 v8, v9
	v_ashrrev_i32_e32 v8, 31, v8
	v_and_b32_e32 v0, exec_hi, v0
	v_xor_b32_e32 v9, vcc_hi, v8
	v_xor_b32_e32 v8, vcc_lo, v8
	v_and_b32_e32 v0, v0, v9
	v_and_b32_e32 v38, v38, v8
	v_lshlrev_b32_e32 v9, 29, v37
	v_mov_b32_e32 v8, v1
	v_cmp_gt_i64_e32 vcc, 0, v[8:9]
	v_not_b32_e32 v8, v9
	v_ashrrev_i32_e32 v8, 31, v8
	v_xor_b32_e32 v9, vcc_hi, v8
	v_xor_b32_e32 v8, vcc_lo, v8
	v_and_b32_e32 v0, v0, v9
	v_and_b32_e32 v38, v38, v8
	v_lshlrev_b32_e32 v9, 28, v37
	v_mov_b32_e32 v8, v1
	v_cmp_gt_i64_e32 vcc, 0, v[8:9]
	v_not_b32_e32 v8, v9
	v_ashrrev_i32_e32 v8, 31, v8
	v_xor_b32_e32 v9, vcc_hi, v8
	v_xor_b32_e32 v8, vcc_lo, v8
	v_and_b32_e32 v0, v0, v9
	v_and_b32_e32 v38, v38, v8
	v_lshlrev_b32_e32 v9, 27, v37
	v_mov_b32_e32 v8, v1
	v_cmp_gt_i64_e32 vcc, 0, v[8:9]
	v_not_b32_e32 v8, v9
	v_ashrrev_i32_e32 v8, 31, v8
	v_xor_b32_e32 v9, vcc_hi, v8
	v_xor_b32_e32 v8, vcc_lo, v8
	v_and_b32_e32 v0, v0, v9
	v_and_b32_e32 v38, v38, v8
	v_lshlrev_b32_e32 v9, 26, v37
	v_mov_b32_e32 v8, v1
	v_cmp_gt_i64_e32 vcc, 0, v[8:9]
	v_not_b32_e32 v8, v9
	v_ashrrev_i32_e32 v8, 31, v8
	v_xor_b32_e32 v9, vcc_hi, v8
	v_xor_b32_e32 v8, vcc_lo, v8
	v_and_b32_e32 v0, v0, v9
	v_and_b32_e32 v38, v38, v8
	v_lshlrev_b32_e32 v9, 25, v37
	v_mov_b32_e32 v8, v1
	v_cmp_gt_i64_e32 vcc, 0, v[8:9]
	v_not_b32_e32 v8, v9
	v_ashrrev_i32_e32 v8, 31, v8
	v_xor_b32_e32 v9, vcc_hi, v8
	v_xor_b32_e32 v8, vcc_lo, v8
	v_and_b32_e32 v0, v0, v9
	v_lshlrev_b32_e32 v9, 24, v37
	v_and_b32_e32 v38, v38, v8
	v_mov_b32_e32 v8, v1
	v_not_b32_e32 v1, v9
	v_cmp_gt_i64_e32 vcc, 0, v[8:9]
	v_ashrrev_i32_e32 v1, 31, v1
	ds_read_b32 v33, v34 offset:64
	v_xor_b32_e32 v8, vcc_hi, v1
	v_xor_b32_e32 v9, vcc_lo, v1
	v_and_b32_e32 v1, v0, v8
	v_and_b32_e32 v0, v38, v9
	v_mbcnt_lo_u32_b32 v8, v0, 0
	v_mbcnt_hi_u32_b32 v37, v1, v8
	v_cmp_eq_u32_e32 vcc, 0, v37
	v_cmp_ne_u64_e64 s[0:1], 0, v[0:1]
	s_and_b64 s[4:5], s[0:1], vcc
	; wave barrier
	s_and_saveexec_b64 s[0:1], s[4:5]
	s_cbranch_execz .LBB14_148
; %bb.147:
	v_bcnt_u32_b32 v0, v0, 0
	v_bcnt_u32_b32 v0, v1, v0
	s_waitcnt lgkmcnt(0)
	v_add_u32_e32 v0, v33, v0
	ds_write_b32 v34, v0 offset:64
.LBB14_148:
	s_or_b64 exec, exec, s[0:1]
	s_waitcnt vmcnt(5)
	v_xor_b32_e32 v36, 0x7fffffff, v36
	v_lshrrev_b32_e32 v0, s68, v36
	v_and_b32_e32 v41, s14, v0
	v_lshl_add_u32 v0, v41, 4, v41
	v_add_lshl_u32 v39, v20, v0, 2
	v_and_b32_e32 v0, 1, v41
	v_mov_b32_e32 v1, 0
	v_lshl_add_u64 v[8:9], v[0:1], 0, -1
	v_cmp_ne_u32_e32 vcc, 0, v0
	; wave barrier
	s_nop 1
	v_xor_b32_e32 v8, vcc_lo, v8
	v_xor_b32_e32 v0, vcc_hi, v9
	v_and_b32_e32 v42, exec_lo, v8
	v_lshlrev_b32_e32 v9, 30, v41
	v_mov_b32_e32 v8, v1
	v_cmp_gt_i64_e32 vcc, 0, v[8:9]
	v_not_b32_e32 v8, v9
	v_ashrrev_i32_e32 v8, 31, v8
	v_and_b32_e32 v0, exec_hi, v0
	v_xor_b32_e32 v9, vcc_hi, v8
	v_xor_b32_e32 v8, vcc_lo, v8
	v_and_b32_e32 v0, v0, v9
	v_and_b32_e32 v42, v42, v8
	v_lshlrev_b32_e32 v9, 29, v41
	v_mov_b32_e32 v8, v1
	v_cmp_gt_i64_e32 vcc, 0, v[8:9]
	v_not_b32_e32 v8, v9
	v_ashrrev_i32_e32 v8, 31, v8
	v_xor_b32_e32 v9, vcc_hi, v8
	v_xor_b32_e32 v8, vcc_lo, v8
	v_and_b32_e32 v0, v0, v9
	v_and_b32_e32 v42, v42, v8
	v_lshlrev_b32_e32 v9, 28, v41
	v_mov_b32_e32 v8, v1
	v_cmp_gt_i64_e32 vcc, 0, v[8:9]
	v_not_b32_e32 v8, v9
	v_ashrrev_i32_e32 v8, 31, v8
	;; [unrolled: 9-line block ×6, first 2 shown]
	v_xor_b32_e32 v9, vcc_hi, v8
	v_xor_b32_e32 v8, vcc_lo, v8
	ds_read_b32 v38, v39 offset:64
	v_and_b32_e32 v8, v42, v8
	v_and_b32_e32 v9, v0, v9
	v_mbcnt_lo_u32_b32 v0, v8, 0
	v_mbcnt_hi_u32_b32 v41, v9, v0
	v_cmp_eq_u32_e32 vcc, 0, v41
	v_cmp_ne_u64_e64 s[0:1], 0, v[8:9]
	s_and_b64 s[4:5], s[0:1], vcc
	; wave barrier
	s_and_saveexec_b64 s[0:1], s[4:5]
	s_cbranch_execz .LBB14_150
; %bb.149:
	v_bcnt_u32_b32 v0, v8, 0
	v_bcnt_u32_b32 v0, v9, v0
	s_waitcnt lgkmcnt(0)
	v_add_u32_e32 v0, v38, v0
	ds_write_b32 v39, v0 offset:64
.LBB14_150:
	s_or_b64 exec, exec, s[0:1]
	s_waitcnt vmcnt(4)
	v_xor_b32_e32 v40, 0x7fffffff, v40
	v_lshrrev_b32_e32 v0, s68, v40
	v_and_b32_e32 v44, s14, v0
	v_lshl_add_u32 v0, v44, 4, v44
	v_add_lshl_u32 v43, v20, v0, 2
	v_and_b32_e32 v0, 1, v44
	v_lshl_add_u64 v[8:9], v[0:1], 0, -1
	v_cmp_ne_u32_e32 vcc, 0, v0
	; wave barrier
	s_nop 1
	v_xor_b32_e32 v8, vcc_lo, v8
	v_xor_b32_e32 v0, vcc_hi, v9
	v_and_b32_e32 v45, exec_lo, v8
	v_lshlrev_b32_e32 v9, 30, v44
	v_mov_b32_e32 v8, v1
	v_cmp_gt_i64_e32 vcc, 0, v[8:9]
	v_not_b32_e32 v8, v9
	v_ashrrev_i32_e32 v8, 31, v8
	v_and_b32_e32 v0, exec_hi, v0
	v_xor_b32_e32 v9, vcc_hi, v8
	v_xor_b32_e32 v8, vcc_lo, v8
	v_and_b32_e32 v0, v0, v9
	v_and_b32_e32 v45, v45, v8
	v_lshlrev_b32_e32 v9, 29, v44
	v_mov_b32_e32 v8, v1
	v_cmp_gt_i64_e32 vcc, 0, v[8:9]
	v_not_b32_e32 v8, v9
	v_ashrrev_i32_e32 v8, 31, v8
	v_xor_b32_e32 v9, vcc_hi, v8
	v_xor_b32_e32 v8, vcc_lo, v8
	v_and_b32_e32 v0, v0, v9
	v_and_b32_e32 v45, v45, v8
	v_lshlrev_b32_e32 v9, 28, v44
	v_mov_b32_e32 v8, v1
	v_cmp_gt_i64_e32 vcc, 0, v[8:9]
	v_not_b32_e32 v8, v9
	v_ashrrev_i32_e32 v8, 31, v8
	;; [unrolled: 9-line block ×5, first 2 shown]
	v_xor_b32_e32 v9, vcc_hi, v8
	v_xor_b32_e32 v8, vcc_lo, v8
	v_and_b32_e32 v0, v0, v9
	v_lshlrev_b32_e32 v9, 24, v44
	v_and_b32_e32 v45, v45, v8
	v_mov_b32_e32 v8, v1
	v_not_b32_e32 v1, v9
	v_cmp_gt_i64_e32 vcc, 0, v[8:9]
	v_ashrrev_i32_e32 v1, 31, v1
	ds_read_b32 v42, v43 offset:64
	v_xor_b32_e32 v8, vcc_hi, v1
	v_xor_b32_e32 v9, vcc_lo, v1
	v_and_b32_e32 v1, v0, v8
	v_and_b32_e32 v0, v45, v9
	v_mbcnt_lo_u32_b32 v8, v0, 0
	v_mbcnt_hi_u32_b32 v44, v1, v8
	v_cmp_eq_u32_e32 vcc, 0, v44
	v_cmp_ne_u64_e64 s[0:1], 0, v[0:1]
	s_and_b64 s[4:5], s[0:1], vcc
	; wave barrier
	s_and_saveexec_b64 s[0:1], s[4:5]
	s_cbranch_execz .LBB14_152
; %bb.151:
	v_bcnt_u32_b32 v0, v0, 0
	v_bcnt_u32_b32 v0, v1, v0
	s_waitcnt lgkmcnt(0)
	v_add_u32_e32 v0, v42, v0
	ds_write_b32 v43, v0 offset:64
.LBB14_152:
	s_or_b64 exec, exec, s[0:1]
	s_waitcnt vmcnt(3)
	v_xor_b32_e32 v35, 0x7fffffff, v35
	v_lshrrev_b32_e32 v0, s68, v35
	v_and_b32_e32 v47, s14, v0
	v_lshl_add_u32 v0, v47, 4, v47
	v_add_lshl_u32 v46, v20, v0, 2
	v_and_b32_e32 v0, 1, v47
	v_mov_b32_e32 v1, 0
	v_lshl_add_u64 v[8:9], v[0:1], 0, -1
	v_cmp_ne_u32_e32 vcc, 0, v0
	; wave barrier
	s_nop 1
	v_xor_b32_e32 v8, vcc_lo, v8
	v_xor_b32_e32 v0, vcc_hi, v9
	v_and_b32_e32 v48, exec_lo, v8
	v_lshlrev_b32_e32 v9, 30, v47
	v_mov_b32_e32 v8, v1
	v_cmp_gt_i64_e32 vcc, 0, v[8:9]
	v_not_b32_e32 v8, v9
	v_ashrrev_i32_e32 v8, 31, v8
	v_and_b32_e32 v0, exec_hi, v0
	v_xor_b32_e32 v9, vcc_hi, v8
	v_xor_b32_e32 v8, vcc_lo, v8
	v_and_b32_e32 v0, v0, v9
	v_and_b32_e32 v48, v48, v8
	v_lshlrev_b32_e32 v9, 29, v47
	v_mov_b32_e32 v8, v1
	v_cmp_gt_i64_e32 vcc, 0, v[8:9]
	v_not_b32_e32 v8, v9
	v_ashrrev_i32_e32 v8, 31, v8
	v_xor_b32_e32 v9, vcc_hi, v8
	v_xor_b32_e32 v8, vcc_lo, v8
	v_and_b32_e32 v0, v0, v9
	v_and_b32_e32 v48, v48, v8
	v_lshlrev_b32_e32 v9, 28, v47
	v_mov_b32_e32 v8, v1
	v_cmp_gt_i64_e32 vcc, 0, v[8:9]
	v_not_b32_e32 v8, v9
	v_ashrrev_i32_e32 v8, 31, v8
	;; [unrolled: 9-line block ×6, first 2 shown]
	v_xor_b32_e32 v9, vcc_hi, v8
	v_xor_b32_e32 v8, vcc_lo, v8
	ds_read_b32 v45, v46 offset:64
	v_and_b32_e32 v8, v48, v8
	v_and_b32_e32 v9, v0, v9
	v_mbcnt_lo_u32_b32 v0, v8, 0
	v_mbcnt_hi_u32_b32 v47, v9, v0
	v_cmp_eq_u32_e32 vcc, 0, v47
	v_cmp_ne_u64_e64 s[0:1], 0, v[8:9]
	s_and_b64 s[4:5], s[0:1], vcc
	; wave barrier
	s_and_saveexec_b64 s[0:1], s[4:5]
	s_cbranch_execz .LBB14_154
; %bb.153:
	v_bcnt_u32_b32 v0, v8, 0
	v_bcnt_u32_b32 v0, v9, v0
	s_waitcnt lgkmcnt(0)
	v_add_u32_e32 v0, v45, v0
	ds_write_b32 v46, v0 offset:64
.LBB14_154:
	s_or_b64 exec, exec, s[0:1]
	s_waitcnt vmcnt(2)
	v_xor_b32_e32 v30, 0x7fffffff, v30
	v_lshrrev_b32_e32 v0, s68, v30
	v_and_b32_e32 v50, s14, v0
	v_lshl_add_u32 v0, v50, 4, v50
	v_add_lshl_u32 v49, v20, v0, 2
	v_and_b32_e32 v0, 1, v50
	v_lshl_add_u64 v[8:9], v[0:1], 0, -1
	v_cmp_ne_u32_e32 vcc, 0, v0
	; wave barrier
	s_nop 1
	v_xor_b32_e32 v8, vcc_lo, v8
	v_xor_b32_e32 v0, vcc_hi, v9
	v_and_b32_e32 v51, exec_lo, v8
	v_lshlrev_b32_e32 v9, 30, v50
	v_mov_b32_e32 v8, v1
	v_cmp_gt_i64_e32 vcc, 0, v[8:9]
	v_not_b32_e32 v8, v9
	v_ashrrev_i32_e32 v8, 31, v8
	v_and_b32_e32 v0, exec_hi, v0
	v_xor_b32_e32 v9, vcc_hi, v8
	v_xor_b32_e32 v8, vcc_lo, v8
	v_and_b32_e32 v0, v0, v9
	v_and_b32_e32 v51, v51, v8
	v_lshlrev_b32_e32 v9, 29, v50
	v_mov_b32_e32 v8, v1
	v_cmp_gt_i64_e32 vcc, 0, v[8:9]
	v_not_b32_e32 v8, v9
	v_ashrrev_i32_e32 v8, 31, v8
	v_xor_b32_e32 v9, vcc_hi, v8
	v_xor_b32_e32 v8, vcc_lo, v8
	v_and_b32_e32 v0, v0, v9
	v_and_b32_e32 v51, v51, v8
	v_lshlrev_b32_e32 v9, 28, v50
	v_mov_b32_e32 v8, v1
	v_cmp_gt_i64_e32 vcc, 0, v[8:9]
	v_not_b32_e32 v8, v9
	v_ashrrev_i32_e32 v8, 31, v8
	;; [unrolled: 9-line block ×5, first 2 shown]
	v_xor_b32_e32 v9, vcc_hi, v8
	v_xor_b32_e32 v8, vcc_lo, v8
	v_and_b32_e32 v0, v0, v9
	v_lshlrev_b32_e32 v9, 24, v50
	v_and_b32_e32 v51, v51, v8
	v_mov_b32_e32 v8, v1
	v_not_b32_e32 v1, v9
	v_cmp_gt_i64_e32 vcc, 0, v[8:9]
	v_ashrrev_i32_e32 v1, 31, v1
	ds_read_b32 v48, v49 offset:64
	v_xor_b32_e32 v8, vcc_hi, v1
	v_xor_b32_e32 v9, vcc_lo, v1
	v_and_b32_e32 v1, v0, v8
	v_and_b32_e32 v0, v51, v9
	v_mbcnt_lo_u32_b32 v8, v0, 0
	v_mbcnt_hi_u32_b32 v51, v1, v8
	v_cmp_eq_u32_e32 vcc, 0, v51
	v_cmp_ne_u64_e64 s[0:1], 0, v[0:1]
	s_and_b64 s[4:5], s[0:1], vcc
	; wave barrier
	s_and_saveexec_b64 s[0:1], s[4:5]
	s_cbranch_execz .LBB14_156
; %bb.155:
	v_bcnt_u32_b32 v0, v0, 0
	v_bcnt_u32_b32 v0, v1, v0
	s_waitcnt lgkmcnt(0)
	v_add_u32_e32 v0, v48, v0
	ds_write_b32 v49, v0 offset:64
.LBB14_156:
	s_or_b64 exec, exec, s[0:1]
	s_waitcnt vmcnt(1)
	v_xor_b32_e32 v50, 0x7fffffff, v25
	v_lshrrev_b32_e32 v0, s68, v50
	v_and_b32_e32 v53, s14, v0
	v_lshl_add_u32 v0, v53, 4, v53
	v_add_lshl_u32 v25, v20, v0, 2
	v_and_b32_e32 v0, 1, v53
	v_mov_b32_e32 v1, 0
	v_lshl_add_u64 v[8:9], v[0:1], 0, -1
	v_cmp_ne_u32_e32 vcc, 0, v0
	; wave barrier
	s_nop 1
	v_xor_b32_e32 v8, vcc_lo, v8
	v_xor_b32_e32 v0, vcc_hi, v9
	v_and_b32_e32 v54, exec_lo, v8
	v_lshlrev_b32_e32 v9, 30, v53
	v_mov_b32_e32 v8, v1
	v_cmp_gt_i64_e32 vcc, 0, v[8:9]
	v_not_b32_e32 v8, v9
	v_ashrrev_i32_e32 v8, 31, v8
	v_and_b32_e32 v0, exec_hi, v0
	v_xor_b32_e32 v9, vcc_hi, v8
	v_xor_b32_e32 v8, vcc_lo, v8
	v_and_b32_e32 v0, v0, v9
	v_and_b32_e32 v54, v54, v8
	v_lshlrev_b32_e32 v9, 29, v53
	v_mov_b32_e32 v8, v1
	v_cmp_gt_i64_e32 vcc, 0, v[8:9]
	v_not_b32_e32 v8, v9
	v_ashrrev_i32_e32 v8, 31, v8
	v_xor_b32_e32 v9, vcc_hi, v8
	v_xor_b32_e32 v8, vcc_lo, v8
	v_and_b32_e32 v0, v0, v9
	v_and_b32_e32 v54, v54, v8
	v_lshlrev_b32_e32 v9, 28, v53
	v_mov_b32_e32 v8, v1
	v_cmp_gt_i64_e32 vcc, 0, v[8:9]
	v_not_b32_e32 v8, v9
	v_ashrrev_i32_e32 v8, 31, v8
	;; [unrolled: 9-line block ×6, first 2 shown]
	v_xor_b32_e32 v9, vcc_hi, v8
	v_xor_b32_e32 v8, vcc_lo, v8
	ds_read_b32 v52, v25 offset:64
	v_and_b32_e32 v8, v54, v8
	v_and_b32_e32 v9, v0, v9
	v_mbcnt_lo_u32_b32 v0, v8, 0
	v_mbcnt_hi_u32_b32 v54, v9, v0
	v_cmp_eq_u32_e32 vcc, 0, v54
	v_cmp_ne_u64_e64 s[0:1], 0, v[8:9]
	s_and_b64 s[4:5], s[0:1], vcc
	; wave barrier
	s_and_saveexec_b64 s[0:1], s[4:5]
	s_cbranch_execz .LBB14_158
; %bb.157:
	v_bcnt_u32_b32 v0, v8, 0
	v_bcnt_u32_b32 v0, v9, v0
	s_waitcnt lgkmcnt(0)
	v_add_u32_e32 v0, v52, v0
	ds_write_b32 v25, v0 offset:64
.LBB14_158:
	s_or_b64 exec, exec, s[0:1]
	s_waitcnt vmcnt(0)
	v_xor_b32_e32 v53, 0x7fffffff, v19
	v_lshrrev_b32_e32 v0, s68, v53
	v_and_b32_e32 v19, s14, v0
	v_lshl_add_u32 v0, v19, 4, v19
	v_add_lshl_u32 v55, v20, v0, 2
	v_and_b32_e32 v0, 1, v19
	v_lshl_add_u64 v[8:9], v[0:1], 0, -1
	v_cmp_ne_u32_e32 vcc, 0, v0
	; wave barrier
	s_nop 1
	v_xor_b32_e32 v8, vcc_lo, v8
	v_xor_b32_e32 v0, vcc_hi, v9
	v_and_b32_e32 v57, exec_lo, v8
	v_lshlrev_b32_e32 v9, 30, v19
	v_mov_b32_e32 v8, v1
	v_cmp_gt_i64_e32 vcc, 0, v[8:9]
	v_not_b32_e32 v8, v9
	v_ashrrev_i32_e32 v8, 31, v8
	v_and_b32_e32 v0, exec_hi, v0
	v_xor_b32_e32 v9, vcc_hi, v8
	v_xor_b32_e32 v8, vcc_lo, v8
	v_and_b32_e32 v0, v0, v9
	v_and_b32_e32 v57, v57, v8
	v_lshlrev_b32_e32 v9, 29, v19
	v_mov_b32_e32 v8, v1
	v_cmp_gt_i64_e32 vcc, 0, v[8:9]
	v_not_b32_e32 v8, v9
	v_ashrrev_i32_e32 v8, 31, v8
	v_xor_b32_e32 v9, vcc_hi, v8
	v_xor_b32_e32 v8, vcc_lo, v8
	v_and_b32_e32 v0, v0, v9
	v_and_b32_e32 v57, v57, v8
	v_lshlrev_b32_e32 v9, 28, v19
	v_mov_b32_e32 v8, v1
	v_cmp_gt_i64_e32 vcc, 0, v[8:9]
	v_not_b32_e32 v8, v9
	v_ashrrev_i32_e32 v8, 31, v8
	;; [unrolled: 9-line block ×5, first 2 shown]
	v_xor_b32_e32 v9, vcc_hi, v8
	v_xor_b32_e32 v8, vcc_lo, v8
	v_and_b32_e32 v0, v0, v9
	v_lshlrev_b32_e32 v9, 24, v19
	v_and_b32_e32 v57, v57, v8
	v_mov_b32_e32 v8, v1
	v_not_b32_e32 v1, v9
	v_cmp_gt_i64_e32 vcc, 0, v[8:9]
	v_ashrrev_i32_e32 v1, 31, v1
	ds_read_b32 v20, v55 offset:64
	v_xor_b32_e32 v8, vcc_hi, v1
	v_xor_b32_e32 v9, vcc_lo, v1
	v_and_b32_e32 v1, v0, v8
	v_and_b32_e32 v0, v57, v9
	v_mbcnt_lo_u32_b32 v8, v0, 0
	v_mbcnt_hi_u32_b32 v57, v1, v8
	v_cmp_eq_u32_e32 vcc, 0, v57
	v_cmp_ne_u64_e64 s[0:1], 0, v[0:1]
	v_add_u32_e32 v56, 64, v7
	s_and_b64 s[4:5], s[0:1], vcc
	; wave barrier
	s_and_saveexec_b64 s[0:1], s[4:5]
	s_cbranch_execz .LBB14_160
; %bb.159:
	v_bcnt_u32_b32 v0, v0, 0
	v_bcnt_u32_b32 v0, v1, v0
	s_waitcnt lgkmcnt(0)
	v_add_u32_e32 v0, v20, v0
	ds_write_b32 v55, v0 offset:64
.LBB14_160:
	s_or_b64 exec, exec, s[0:1]
	; wave barrier
	s_waitcnt lgkmcnt(0)
	s_barrier
	ds_read2_b32 v[8:9], v7 offset0:16 offset1:17
	ds_read2_b32 v[0:1], v56 offset0:2 offset1:3
	ds_read_b32 v19, v56 offset:16
	v_cmp_lt_u32_e64 s[8:9], 31, v4
	s_waitcnt lgkmcnt(1)
	v_add3_u32 v58, v9, v8, v0
	s_waitcnt lgkmcnt(0)
	v_add3_u32 v19, v58, v1, v19
	v_and_b32_e32 v58, 15, v4
	v_cmp_eq_u32_e32 vcc, 0, v58
	v_mov_b32_dpp v59, v19 row_shr:1 row_mask:0xf bank_mask:0xf
	v_cmp_lt_u32_e64 s[0:1], 1, v58
	v_cndmask_b32_e64 v59, v59, 0, vcc
	v_add_u32_e32 v19, v59, v19
	v_cmp_lt_u32_e64 s[6:7], 3, v58
	v_cmp_lt_u32_e64 s[4:5], 7, v58
	v_mov_b32_dpp v59, v19 row_shr:2 row_mask:0xf bank_mask:0xf
	v_cndmask_b32_e64 v59, 0, v59, s[0:1]
	v_add_u32_e32 v19, v19, v59
	s_nop 1
	v_mov_b32_dpp v59, v19 row_shr:4 row_mask:0xf bank_mask:0xf
	v_cndmask_b32_e64 v59, 0, v59, s[6:7]
	v_add_u32_e32 v19, v19, v59
	s_nop 1
	v_mov_b32_dpp v59, v19 row_shr:8 row_mask:0xf bank_mask:0xf
	v_cndmask_b32_e64 v58, 0, v59, s[4:5]
	v_add_u32_e32 v19, v19, v58
	v_bfe_i32 v59, v4, 4, 1
	s_nop 0
	v_mov_b32_dpp v58, v19 row_bcast:15 row_mask:0xf bank_mask:0xf
	v_and_b32_e32 v58, v59, v58
	v_add_u32_e32 v19, v19, v58
	v_lshrrev_b32_e32 v59, 6, v2
	s_nop 0
	v_mov_b32_dpp v58, v19 row_bcast:31 row_mask:0xf bank_mask:0xf
	v_cndmask_b32_e64 v58, 0, v58, s[8:9]
	v_add_u32_e32 v58, v19, v58
	v_and_b32_e32 v19, 63, v2
	v_cmp_eq_u32_e64 s[8:9], 63, v19
	s_and_saveexec_b64 s[12:13], s[8:9]
	s_cbranch_execz .LBB14_162
; %bb.161:
	v_lshlrev_b32_e32 v19, 2, v59
	ds_write_b32 v19, v58
.LBB14_162:
	s_or_b64 exec, exec, s[12:13]
	v_cmp_gt_u32_e64 s[8:9], 16, v2
	v_lshlrev_b32_e32 v19, 2, v2
	s_waitcnt lgkmcnt(0)
	s_barrier
	s_and_saveexec_b64 s[12:13], s[8:9]
	s_cbranch_execz .LBB14_164
; %bb.163:
	ds_read_b32 v60, v19
	s_waitcnt lgkmcnt(0)
	s_nop 0
	v_mov_b32_dpp v61, v60 row_shr:1 row_mask:0xf bank_mask:0xf
	v_cndmask_b32_e64 v61, v61, 0, vcc
	v_add_u32_e32 v60, v61, v60
	s_nop 1
	v_mov_b32_dpp v61, v60 row_shr:2 row_mask:0xf bank_mask:0xf
	v_cndmask_b32_e64 v61, 0, v61, s[0:1]
	v_add_u32_e32 v60, v60, v61
	s_nop 1
	v_mov_b32_dpp v61, v60 row_shr:4 row_mask:0xf bank_mask:0xf
	v_cndmask_b32_e64 v61, 0, v61, s[6:7]
	;; [unrolled: 4-line block ×3, first 2 shown]
	v_add_u32_e32 v60, v60, v61
	ds_write_b32 v19, v60
.LBB14_164:
	s_or_b64 exec, exec, s[12:13]
	v_cmp_lt_u32_e32 vcc, 63, v2
	v_mov_b32_e32 v60, 0
	s_waitcnt lgkmcnt(0)
	s_barrier
	s_and_saveexec_b64 s[0:1], vcc
	s_cbranch_execz .LBB14_166
; %bb.165:
	v_lshl_add_u32 v59, v59, 2, -4
	ds_read_b32 v60, v59
.LBB14_166:
	s_or_b64 exec, exec, s[0:1]
	v_add_u32_e32 v59, -1, v4
	v_and_b32_e32 v61, 64, v4
	v_cmp_lt_i32_e32 vcc, v59, v61
	s_waitcnt lgkmcnt(0)
	v_add_u32_e32 v58, v60, v58
	s_movk_i32 s4, 0xff
	v_cndmask_b32_e32 v59, v59, v4, vcc
	v_lshlrev_b32_e32 v59, 2, v59
	ds_bpermute_b32 v58, v59, v58
	v_cmp_eq_u32_e32 vcc, 0, v4
	s_movk_i32 s5, 0x100
	v_cmp_lt_u32_e64 s[0:1], s4, v2
	s_waitcnt lgkmcnt(0)
	v_cndmask_b32_e32 v58, v58, v60, vcc
	v_cmp_ne_u32_e32 vcc, 0, v2
	s_nop 1
	v_cndmask_b32_e32 v58, 0, v58, vcc
	v_add_u32_e32 v8, v58, v8
	v_add_u32_e32 v9, v8, v9
	;; [unrolled: 1-line block ×4, first 2 shown]
	ds_write2_b32 v7, v58, v8 offset0:16 offset1:17
	ds_write2_b32 v56, v9, v0 offset0:2 offset1:3
	ds_write_b32 v56, v1 offset:16
	s_waitcnt lgkmcnt(0)
	s_barrier
	ds_read_b32 v9, v12 offset:64
	ds_read_b32 v12, v14 offset:64
	;; [unrolled: 1-line block ×12, first 2 shown]
	v_cmp_gt_u32_e32 vcc, s5, v2
	v_mov_b64_e32 v[0:1], 0
                                        ; implicit-def: $vgpr8
	s_and_saveexec_b64 s[6:7], vcc
	s_cbranch_execz .LBB14_170
; %bb.167:
	v_mul_u32_u24_e32 v0, 17, v2
	v_lshlrev_b32_e32 v7, 2, v0
	ds_read_b32 v0, v7 offset:64
	v_cmp_ne_u32_e64 s[4:5], s4, v2
	v_mov_b32_e32 v1, 0x3000
	s_and_saveexec_b64 s[8:9], s[4:5]
	s_cbranch_execz .LBB14_169
; %bb.168:
	ds_read_b32 v1, v7 offset:132
.LBB14_169:
	s_or_b64 exec, exec, s[8:9]
	s_waitcnt lgkmcnt(0)
	v_sub_u32_e32 v8, v1, v0
	v_mov_b32_e32 v1, 0
.LBB14_170:
	s_or_b64 exec, exec, s[6:7]
	s_waitcnt lgkmcnt(11)
	v_add_u32_e32 v9, v9, v11
	s_waitcnt lgkmcnt(10)
	v_add3_u32 v25, v16, v13, v12
	v_lshlrev_b32_e32 v11, 2, v9
	s_waitcnt lgkmcnt(9)
	v_add3_u32 v29, v22, v17, v14
	s_waitcnt lgkmcnt(0)
	s_barrier
	ds_write_b32 v11, v3 offset:2048
	v_lshlrev_b32_e32 v3, 2, v25
	v_add3_u32 v27, v27, v23, v18
	ds_write_b32 v3, v10 offset:2048
	v_lshlrev_b32_e32 v3, 2, v29
	v_add3_u32 v28, v32, v28, v24
	;; [unrolled: 3-line block ×9, first 2 shown]
	ds_write_b32 v3, v30 offset:2048
	v_lshlrev_b32_e32 v3, 2, v39
	v_mov_b32_e32 v7, v5
	ds_write_b32 v3, v50 offset:2048
	v_lshlrev_b32_e32 v3, 2, v41
	ds_write_b32 v3, v53 offset:2048
	s_waitcnt lgkmcnt(0)
	s_barrier
	s_and_saveexec_b64 s[4:5], s[0:1]
	s_xor_b64 s[0:1], exec, s[4:5]
; %bb.171:
	v_mov_b32_e32 v3, 0
; %bb.172:
	s_andn2_saveexec_b64 s[4:5], s[0:1]
	s_cbranch_execz .LBB14_182
; %bb.173:
	v_lshl_or_b32 v12, s2, 8, v2
	v_mov_b32_e32 v13, 0
	v_lshl_add_u64 v[10:11], v[12:13], 2, s[72:73]
	v_or_b32_e32 v3, 2.0, v8
	s_mov_b64 s[6:7], 0
	s_brev_b32 s15, 1
	s_mov_b32 s16, s2
	v_mov_b32_e32 v16, 0
	global_store_dword v[10:11], v3, off sc1
                                        ; implicit-def: $sgpr0_sgpr1
	s_branch .LBB14_176
.LBB14_174:                             ;   in Loop: Header=BB14_176 Depth=1
	s_or_b64 exec, exec, s[12:13]
.LBB14_175:                             ;   in Loop: Header=BB14_176 Depth=1
	s_or_b64 exec, exec, s[8:9]
	v_and_b32_e32 v12, 0x3fffffff, v12
	v_add_u32_e32 v16, v12, v16
	v_cmp_eq_u32_e64 s[0:1], s15, v3
	s_and_b64 s[8:9], exec, s[0:1]
	s_or_b64 s[6:7], s[8:9], s[6:7]
	s_andn2_b64 exec, exec, s[6:7]
	s_cbranch_execz .LBB14_181
.LBB14_176:                             ; =>This Loop Header: Depth=1
                                        ;     Child Loop BB14_179 Depth 2
	s_or_b64 s[0:1], s[0:1], exec
	s_cmp_eq_u32 s16, 0
	s_cbranch_scc1 .LBB14_180
; %bb.177:                              ;   in Loop: Header=BB14_176 Depth=1
	s_add_i32 s16, s16, -1
	v_lshl_or_b32 v12, s16, 8, v2
	v_lshl_add_u64 v[14:15], v[12:13], 2, s[72:73]
	global_load_dword v12, v[14:15], off sc1
	s_waitcnt vmcnt(0)
	v_and_b32_e32 v3, -2.0, v12
	v_cmp_eq_u32_e64 s[0:1], 0, v3
	s_and_saveexec_b64 s[8:9], s[0:1]
	s_cbranch_execz .LBB14_175
; %bb.178:                              ;   in Loop: Header=BB14_176 Depth=1
	s_mov_b64 s[12:13], 0
.LBB14_179:                             ;   Parent Loop BB14_176 Depth=1
                                        ; =>  This Inner Loop Header: Depth=2
	global_load_dword v12, v[14:15], off sc1
	s_waitcnt vmcnt(0)
	v_and_b32_e32 v3, -2.0, v12
	v_cmp_ne_u32_e64 s[0:1], 0, v3
	s_or_b64 s[12:13], s[0:1], s[12:13]
	s_andn2_b64 exec, exec, s[12:13]
	s_cbranch_execnz .LBB14_179
	s_branch .LBB14_174
.LBB14_180:                             ;   in Loop: Header=BB14_176 Depth=1
                                        ; implicit-def: $sgpr16
	s_and_b64 s[8:9], exec, s[0:1]
	s_or_b64 s[6:7], s[8:9], s[6:7]
	s_andn2_b64 exec, exec, s[6:7]
	s_cbranch_execnz .LBB14_176
.LBB14_181:
	s_or_b64 exec, exec, s[6:7]
	v_add_u32_e32 v3, v16, v8
	v_or_b32_e32 v3, 0x80000000, v3
	global_store_dword v[10:11], v3, off sc1
	v_lshlrev_b32_e32 v14, 3, v2
	global_load_dwordx2 v[10:11], v14, s[64:65]
	v_sub_co_u32_e64 v12, s[0:1], v16, v0
	v_mov_b32_e32 v3, 0
	s_nop 0
	v_subb_co_u32_e64 v13, s[0:1], 0, v1, s[0:1]
	s_waitcnt vmcnt(0)
	v_lshl_add_u64 v[10:11], v[12:13], 0, v[10:11]
	ds_write_b64 v14, v[10:11]
.LBB14_182:
	s_or_b64 exec, exec, s[4:5]
	s_waitcnt lgkmcnt(0)
	s_barrier
	ds_read2st64_b32 v[12:13], v19 offset0:24 offset1:40
	v_lshlrev_b32_e32 v10, 2, v2
	ds_read2st64_b32 v[14:15], v19 offset0:56 offset1:72
	ds_read_b32 v18, v10 offset:2048
	ds_read2st64_b32 v[16:17], v19 offset0:88 offset1:104
	s_waitcnt lgkmcnt(3)
	v_lshrrev_b32_e32 v11, s68, v12
	v_and_b32_e32 v11, s14, v11
	v_lshlrev_b32_e32 v31, 3, v11
	s_waitcnt lgkmcnt(2)
	v_lshrrev_b32_e32 v11, s68, v14
	v_and_b32_e32 v11, s14, v11
	s_waitcnt lgkmcnt(1)
	v_lshrrev_b32_e32 v24, s68, v18
	v_lshlrev_b32_e32 v35, 3, v11
	s_waitcnt lgkmcnt(0)
	v_lshrrev_b32_e32 v11, s68, v16
	v_and_b32_e32 v24, s14, v24
	v_and_b32_e32 v11, s14, v11
	v_lshlrev_b32_e32 v36, 3, v24
	v_lshlrev_b32_e32 v26, 3, v11
	ds_read_b64 v[10:11], v31
	ds_read_b64 v[20:21], v35
	;; [unrolled: 1-line block ×3, first 2 shown]
	v_lshrrev_b32_e32 v24, s68, v13
	ds_read_b64 v[42:43], v36
	v_and_b32_e32 v24, s14, v24
	v_lshlrev_b32_e32 v40, 3, v24
	v_lshrrev_b32_e32 v24, s68, v15
	v_and_b32_e32 v24, s14, v24
	v_lshlrev_b32_e32 v30, 3, v24
	v_lshrrev_b32_e32 v24, s68, v17
	v_and_b32_e32 v24, s14, v24
	s_waitcnt lgkmcnt(0)
	v_lshl_add_u64 v[42:43], v[42:43], 2, s[58:59]
	v_xor_b32_e32 v18, 0x7fffffff, v18
	v_lshlrev_b32_e32 v52, 3, v24
	ds_read_b64 v[44:45], v40
	ds_read_b64 v[46:47], v30
	ds_read_b64 v[48:49], v52
	v_lshl_add_u64 v[42:43], v[2:3], 2, v[42:43]
	global_store_dword v[42:43], v18, off
	v_lshl_add_u64 v[42:43], v[10:11], 2, s[58:59]
	v_or_b32_e32 v10, 0x1000, v19
	v_mov_b32_e32 v11, 0
	v_xor_b32_e32 v12, 0x7fffffff, v12
	v_lshl_add_u64 v[42:43], v[42:43], 0, v[10:11]
	global_store_dword v[42:43], v12, off
	v_xor_b32_e32 v18, 0x7fffffff, v13
	s_waitcnt lgkmcnt(2)
	v_lshl_add_u64 v[12:13], v[44:45], 2, s[58:59]
	v_or_b32_e32 v10, 0x2000, v19
	v_lshl_add_u64 v[12:13], v[12:13], 0, v[10:11]
	global_store_dword v[12:13], v18, off
	v_lshl_add_u64 v[12:13], v[20:21], 2, s[58:59]
	v_or_b32_e32 v10, 0x3000, v19
	v_xor_b32_e32 v14, 0x7fffffff, v14
	v_lshl_add_u64 v[12:13], v[12:13], 0, v[10:11]
	v_or_b32_e32 v10, 0x1000, v2
	global_store_dword v[12:13], v14, off
	v_xor_b32_e32 v18, 0x7fffffff, v15
	s_waitcnt lgkmcnt(1)
	v_lshl_add_u64 v[12:13], v[46:47], 2, s[58:59]
	v_lshlrev_b32_e32 v14, 2, v10
	v_mov_b32_e32 v15, v11
	v_lshl_add_u64 v[12:13], v[12:13], 0, v[14:15]
	global_store_dword v[12:13], v18, off
	v_or_b32_e32 v12, 0x1400, v2
	v_lshl_add_u64 v[14:15], v[22:23], 2, s[58:59]
	v_lshlrev_b32_e32 v20, 2, v12
	v_mov_b32_e32 v21, v11
	ds_read2st64_b32 v[22:23], v19 offset0:120 offset1:136
	v_xor_b32_e32 v13, 0x7fffffff, v16
	v_lshl_add_u64 v[14:15], v[14:15], 0, v[20:21]
	global_store_dword v[14:15], v13, off
	v_or_b32_e32 v14, 0x1800, v2
	v_xor_b32_e32 v13, 0x7fffffff, v17
	s_waitcnt lgkmcnt(1)
	v_lshl_add_u64 v[16:17], v[48:49], 2, s[58:59]
	v_lshlrev_b32_e32 v20, 2, v14
	v_lshl_add_u64 v[16:17], v[16:17], 0, v[20:21]
	ds_read2st64_b32 v[42:43], v19 offset0:152 offset1:168
	global_store_dword v[16:17], v13, off
	s_waitcnt lgkmcnt(1)
	v_lshrrev_b32_e32 v13, s68, v22
	v_and_b32_e32 v13, s14, v13
	v_lshlrev_b32_e32 v53, 3, v13
	v_lshrrev_b32_e32 v13, s68, v23
	v_and_b32_e32 v13, s14, v13
	v_lshlrev_b32_e32 v54, 3, v13
	s_waitcnt lgkmcnt(0)
	v_lshrrev_b32_e32 v13, s68, v42
	ds_read_b64 v[20:21], v53
	v_and_b32_e32 v13, s14, v13
	v_lshlrev_b32_e32 v55, 3, v13
	v_lshrrev_b32_e32 v13, s68, v43
	v_and_b32_e32 v13, s14, v13
	v_or_b32_e32 v16, 0x1c00, v2
	v_lshlrev_b32_e32 v56, 3, v13
	ds_read_b64 v[44:45], v54
	ds_read_b64 v[46:47], v55
	;; [unrolled: 1-line block ×3, first 2 shown]
	s_waitcnt lgkmcnt(3)
	v_lshl_add_u64 v[20:21], v[20:21], 2, s[58:59]
	v_lshlrev_b32_e32 v50, 2, v16
	v_mov_b32_e32 v51, v11
	v_xor_b32_e32 v15, 0x7fffffff, v22
	v_lshl_add_u64 v[20:21], v[20:21], 0, v[50:51]
	v_or_b32_e32 v18, 0x2000, v2
	global_store_dword v[20:21], v15, off
	v_xor_b32_e32 v13, 0x7fffffff, v23
	s_waitcnt lgkmcnt(2)
	v_lshl_add_u64 v[20:21], v[44:45], 2, s[58:59]
	v_lshlrev_b32_e32 v22, 2, v18
	v_mov_b32_e32 v23, v11
	v_lshl_add_u64 v[20:21], v[20:21], 0, v[22:23]
	global_store_dword v[20:21], v13, off
	v_or_b32_e32 v20, 0x2400, v2
	s_waitcnt lgkmcnt(1)
	v_lshl_add_u64 v[22:23], v[46:47], 2, s[58:59]
	v_lshlrev_b32_e32 v44, 2, v20
	v_mov_b32_e32 v45, v11
	v_xor_b32_e32 v13, 0x7fffffff, v42
	v_lshl_add_u64 v[22:23], v[22:23], 0, v[44:45]
	global_store_dword v[22:23], v13, off
	ds_read_b32 v13, v19 offset:47104
	v_xor_b32_e32 v15, 0x7fffffff, v43
	s_waitcnt lgkmcnt(1)
	v_lshl_add_u64 v[42:43], v[48:49], 2, s[58:59]
	v_or_b32_e32 v22, 0x2800, v2
	v_lshlrev_b32_e32 v44, 2, v22
	s_waitcnt lgkmcnt(0)
	v_lshrrev_b32_e32 v17, s68, v13
	v_and_b32_e32 v17, s14, v17
	v_lshlrev_b32_e32 v48, 3, v17
	ds_read_b64 v[46:47], v48
	v_lshl_add_u64 v[42:43], v[42:43], 0, v[44:45]
	v_or_b32_e32 v24, 0x2c00, v2
	s_add_u32 s0, s60, s54
	global_store_dword v[42:43], v15, off
	s_waitcnt lgkmcnt(0)
	v_lshl_add_u64 v[42:43], v[46:47], 2, s[58:59]
	v_lshlrev_b32_e32 v44, 2, v24
	s_addc_u32 s1, s61, 0
	v_xor_b32_e32 v13, 0x7fffffff, v13
	v_lshl_add_u64 v[42:43], v[42:43], 0, v[44:45]
	v_lshl_add_u64 v[4:5], s[0:1], 0, v[4:5]
	global_store_dword v[42:43], v13, off
	v_lshl_add_u64 v[4:5], v[4:5], 0, v[6:7]
	global_load_ubyte v6, v[4:5], off
	global_load_ubyte v7, v[4:5], off offset:64
	global_load_ubyte v42, v[4:5], off offset:128
	;; [unrolled: 1-line block ×11, first 2 shown]
	s_barrier
	v_mov_b32_e32 v13, v11
	v_mov_b32_e32 v15, v11
	;; [unrolled: 1-line block ×6, first 2 shown]
	s_add_i32 s3, s3, -1
	s_cmp_eq_u32 s2, s3
	s_cselect_b64 s[0:1], -1, 0
	s_and_b64 s[2:3], vcc, s[0:1]
	s_waitcnt vmcnt(11)
	ds_write_b8 v9, v6 offset:2048
	s_waitcnt vmcnt(10)
	ds_write_b8 v25, v7 offset:2048
	s_waitcnt vmcnt(9)
	ds_write_b8 v29, v42 offset:2048
	s_waitcnt vmcnt(8)
	ds_write_b8 v27, v43 offset:2048
	s_waitcnt vmcnt(7)
	ds_write_b8 v28, v44 offset:2048
	s_waitcnt vmcnt(6)
	ds_write_b8 v32, v45 offset:2048
	s_waitcnt vmcnt(5)
	ds_write_b8 v33, v46 offset:2048
	s_waitcnt vmcnt(4)
	ds_write_b8 v34, v47 offset:2048
	s_waitcnt vmcnt(3)
	ds_write_b8 v37, v49 offset:2048
	s_waitcnt vmcnt(2)
	ds_write_b8 v38, v50 offset:2048
	s_waitcnt vmcnt(1)
	ds_write_b8 v39, v51 offset:2048
	s_waitcnt vmcnt(0)
	ds_write_b8 v41, v57 offset:2048
	s_waitcnt lgkmcnt(0)
	s_barrier
	ds_read_b64 v[4:5], v36
	ds_read_b64 v[6:7], v31
	;; [unrolled: 1-line block ×4, first 2 shown]
	ds_read_u8 v9, v2 offset:2048
	ds_read_u8 v27, v2 offset:3072
	;; [unrolled: 1-line block ×8, first 2 shown]
	v_mov_b32_e32 v25, v11
	s_waitcnt lgkmcnt(11)
	v_lshl_add_u64 v[4:5], s[62:63], 0, v[4:5]
	v_lshl_add_u64 v[4:5], v[4:5], 0, v[2:3]
	s_waitcnt lgkmcnt(7)
	global_store_byte v[4:5], v9, off
	v_lshl_add_u64 v[4:5], s[62:63], 0, v[6:7]
	v_lshl_add_u64 v[4:5], v[4:5], 0, v[2:3]
	s_waitcnt lgkmcnt(6)
	global_store_byte v[4:5], v27, off offset:1024
	v_lshl_add_u64 v[4:5], s[62:63], 0, v[28:29]
	v_lshl_add_u64 v[4:5], v[4:5], 0, v[2:3]
	s_waitcnt lgkmcnt(5)
	global_store_byte v[4:5], v31, off offset:2048
	v_lshl_add_u64 v[4:5], s[62:63], 0, v[32:33]
	v_lshl_add_u64 v[4:5], v[4:5], 0, v[2:3]
	ds_read_b64 v[6:7], v30
	s_waitcnt lgkmcnt(5)
	global_store_byte v[4:5], v34, off offset:3072
	ds_read_b64 v[4:5], v26
	ds_read_b64 v[26:27], v52
	;; [unrolled: 1-line block ×3, first 2 shown]
	s_waitcnt lgkmcnt(3)
	v_lshl_add_u64 v[6:7], s[62:63], 0, v[6:7]
	s_waitcnt lgkmcnt(2)
	v_lshl_add_u64 v[4:5], s[62:63], 0, v[4:5]
	v_lshl_add_u64 v[6:7], v[6:7], 0, v[10:11]
	;; [unrolled: 1-line block ×3, first 2 shown]
	global_store_byte v[6:7], v35, off
	global_store_byte v[4:5], v36, off
	s_waitcnt lgkmcnt(1)
	v_lshl_add_u64 v[4:5], s[62:63], 0, v[26:27]
	v_lshl_add_u64 v[4:5], v[4:5], 0, v[14:15]
	global_store_byte v[4:5], v37, off
	s_waitcnt lgkmcnt(0)
	v_lshl_add_u64 v[4:5], s[62:63], 0, v[28:29]
	v_lshl_add_u64 v[4:5], v[4:5], 0, v[16:17]
	ds_read_b64 v[6:7], v54
	global_store_byte v[4:5], v38, off
	ds_read_b64 v[4:5], v55
	ds_read_b64 v[12:13], v56
	;; [unrolled: 1-line block ×3, first 2 shown]
	ds_read_u8 v9, v2 offset:10240
	ds_read_u8 v10, v2 offset:11264
	;; [unrolled: 1-line block ×4, first 2 shown]
	s_waitcnt lgkmcnt(7)
	v_lshl_add_u64 v[6:7], s[62:63], 0, v[6:7]
	s_waitcnt lgkmcnt(6)
	v_lshl_add_u64 v[4:5], s[62:63], 0, v[4:5]
	v_lshl_add_u64 v[6:7], v[6:7], 0, v[18:19]
	;; [unrolled: 1-line block ×3, first 2 shown]
	s_waitcnt lgkmcnt(3)
	global_store_byte v[6:7], v9, off
	s_waitcnt lgkmcnt(2)
	global_store_byte v[4:5], v10, off
	v_lshl_add_u64 v[4:5], s[62:63], 0, v[12:13]
	v_lshl_add_u64 v[4:5], v[4:5], 0, v[22:23]
	s_waitcnt lgkmcnt(1)
	global_store_byte v[4:5], v16, off
	v_lshl_add_u64 v[4:5], s[62:63], 0, v[14:15]
	v_lshl_add_u64 v[4:5], v[4:5], 0, v[24:25]
	s_waitcnt lgkmcnt(0)
	global_store_byte v[4:5], v17, off
                                        ; implicit-def: $vgpr4_vgpr5
	s_and_saveexec_b64 s[0:1], s[2:3]
; %bb.183:
	v_mov_b32_e32 v9, v11
	v_lshl_add_u64 v[4:5], v[0:1], 0, v[8:9]
	s_or_b64 s[10:11], s[10:11], exec
; %bb.184:
	s_or_b64 exec, exec, s[0:1]
.LBB14_185:
	s_and_saveexec_b64 s[0:1], s[10:11]
	s_cbranch_execnz .LBB14_187
; %bb.186:
	s_endpgm
.LBB14_187:
	v_lshlrev_b32_e32 v0, 3, v2
	ds_read_b64 v[0:1], v0
	v_mov_b32_e32 v6, s66
	v_mov_b32_e32 v7, s67
	v_lshl_add_u64 v[2:3], v[2:3], 3, v[6:7]
	s_waitcnt lgkmcnt(0)
	v_lshl_add_u64 v[0:1], v[0:1], 0, v[4:5]
	global_store_dwordx2 v[2:3], v[0:1], off
	s_endpgm
.LBB14_188:
	global_load_ubyte v3, v[4:5], off
	s_or_b64 exec, exec, s[70:71]
                                        ; implicit-def: $vgpr6
	s_and_saveexec_b64 s[70:71], s[52:53]
	s_cbranch_execz .LBB14_95
.LBB14_189:
	global_load_ubyte v6, v[4:5], off offset:64
	s_or_b64 exec, exec, s[70:71]
                                        ; implicit-def: $vgpr7
	s_and_saveexec_b64 s[52:53], s[4:5]
	s_cbranch_execz .LBB14_96
.LBB14_190:
	global_load_ubyte v7, v[4:5], off offset:128
	s_or_b64 exec, exec, s[52:53]
                                        ; implicit-def: $vgpr13
	s_and_saveexec_b64 s[4:5], s[6:7]
	s_cbranch_execz .LBB14_97
.LBB14_191:
	global_load_ubyte v13, v[4:5], off offset:192
	s_or_b64 exec, exec, s[4:5]
                                        ; implicit-def: $vgpr15
	s_and_saveexec_b64 s[4:5], s[8:9]
	s_cbranch_execz .LBB14_98
.LBB14_192:
	global_load_ubyte v15, v[4:5], off offset:256
	s_or_b64 exec, exec, s[4:5]
                                        ; implicit-def: $vgpr17
	s_and_saveexec_b64 s[4:5], s[10:11]
	s_cbranch_execz .LBB14_99
.LBB14_193:
	global_load_ubyte v17, v[4:5], off offset:320
	s_or_b64 exec, exec, s[4:5]
                                        ; implicit-def: $vgpr19
	s_and_saveexec_b64 s[4:5], s[12:13]
	s_cbranch_execz .LBB14_100
.LBB14_194:
	global_load_ubyte v19, v[4:5], off offset:384
	s_or_b64 exec, exec, s[4:5]
                                        ; implicit-def: $vgpr23
	s_and_saveexec_b64 s[4:5], s[14:15]
	s_cbranch_execz .LBB14_101
.LBB14_195:
	global_load_ubyte v23, v[4:5], off offset:448
	s_or_b64 exec, exec, s[4:5]
                                        ; implicit-def: $vgpr38
	s_and_saveexec_b64 s[4:5], s[16:17]
	s_cbranch_execz .LBB14_102
.LBB14_196:
	global_load_ubyte v38, v[4:5], off offset:512
	s_or_b64 exec, exec, s[4:5]
                                        ; implicit-def: $vgpr41
	s_and_saveexec_b64 s[4:5], s[18:19]
	s_cbranch_execz .LBB14_103
.LBB14_197:
	global_load_ubyte v41, v[4:5], off offset:576
	s_or_b64 exec, exec, s[4:5]
                                        ; implicit-def: $vgpr44
	s_and_saveexec_b64 s[4:5], s[20:21]
	s_cbranch_execz .LBB14_104
.LBB14_198:
	global_load_ubyte v44, v[4:5], off offset:640
	s_or_b64 exec, exec, s[4:5]
                                        ; implicit-def: $vgpr48
	s_and_saveexec_b64 s[4:5], s[22:23]
	s_cbranch_execz .LBB14_105
.LBB14_199:
	global_load_ubyte v48, v[4:5], off offset:704
	s_or_b64 exec, exec, s[4:5]
                                        ; implicit-def: $vgpr49
	s_and_saveexec_b64 s[4:5], s[26:27]
	s_cbranch_execz .LBB14_106
.LBB14_200:
	ds_read_b32 v4, v12 offset:2048
	s_waitcnt lgkmcnt(0)
	v_lshrrev_b32_e32 v4, s68, v4
	v_and_b32_e32 v49, s33, v4
	s_or_b64 exec, exec, s[4:5]
                                        ; implicit-def: $vgpr47
	s_and_saveexec_b64 s[4:5], s[28:29]
	s_cbranch_execz .LBB14_107
.LBB14_201:
	ds_read_b32 v4, v12 offset:6144
	s_waitcnt lgkmcnt(0)
	v_lshrrev_b32_e32 v4, s68, v4
	v_and_b32_e32 v47, s33, v4
	s_or_b64 exec, exec, s[4:5]
                                        ; implicit-def: $vgpr46
	s_and_saveexec_b64 s[4:5], s[30:31]
	s_cbranch_execz .LBB14_108
.LBB14_202:
	ds_read_b32 v4, v12 offset:10240
	s_waitcnt lgkmcnt(0)
	v_lshrrev_b32_e32 v4, s68, v4
	v_and_b32_e32 v46, s33, v4
	s_or_b64 exec, exec, s[4:5]
                                        ; implicit-def: $vgpr45
	s_and_saveexec_b64 s[4:5], s[34:35]
	s_cbranch_execz .LBB14_109
.LBB14_203:
	ds_read_b32 v4, v12 offset:14336
	s_waitcnt lgkmcnt(0)
	v_lshrrev_b32_e32 v4, s68, v4
	v_and_b32_e32 v45, s33, v4
	s_or_b64 exec, exec, s[4:5]
                                        ; implicit-def: $vgpr43
	s_and_saveexec_b64 s[4:5], s[36:37]
	s_cbranch_execz .LBB14_110
.LBB14_204:
	ds_read_b32 v4, v12 offset:18432
	s_waitcnt lgkmcnt(0)
	v_lshrrev_b32_e32 v4, s68, v4
	v_and_b32_e32 v43, s33, v4
	s_or_b64 exec, exec, s[4:5]
                                        ; implicit-def: $vgpr42
	s_and_saveexec_b64 s[4:5], s[38:39]
	s_cbranch_execz .LBB14_111
.LBB14_205:
	ds_read_b32 v4, v12 offset:22528
	s_waitcnt lgkmcnt(0)
	v_lshrrev_b32_e32 v4, s68, v4
	v_and_b32_e32 v42, s33, v4
	s_or_b64 exec, exec, s[4:5]
                                        ; implicit-def: $vgpr40
	s_and_saveexec_b64 s[4:5], s[40:41]
	s_cbranch_execz .LBB14_112
.LBB14_206:
	ds_read_b32 v4, v12 offset:26624
	s_waitcnt lgkmcnt(0)
	v_lshrrev_b32_e32 v4, s68, v4
	v_and_b32_e32 v40, s33, v4
	s_or_b64 exec, exec, s[4:5]
                                        ; implicit-def: $vgpr39
	s_and_saveexec_b64 s[4:5], s[42:43]
	s_cbranch_execz .LBB14_113
.LBB14_207:
	ds_read_b32 v4, v12 offset:30720
	s_waitcnt lgkmcnt(0)
	v_lshrrev_b32_e32 v4, s68, v4
	v_and_b32_e32 v39, s33, v4
	s_or_b64 exec, exec, s[4:5]
                                        ; implicit-def: $vgpr34
	s_and_saveexec_b64 s[4:5], s[44:45]
	s_cbranch_execnz .LBB14_114
	s_branch .LBB14_115
.LBB14_208:
	ds_read_b32 v5, v12 offset:38912
	s_waitcnt lgkmcnt(0)
	v_lshrrev_b32_e32 v5, s68, v5
	v_and_b32_e32 v29, s33, v5
	s_or_b64 exec, exec, s[4:5]
	s_and_saveexec_b64 s[4:5], s[48:49]
	s_cbranch_execz .LBB14_117
.LBB14_209:
	ds_read_b32 v4, v12 offset:43008
	s_waitcnt lgkmcnt(0)
	v_lshrrev_b32_e32 v4, s68, v4
	v_and_b32_e32 v4, s33, v4
	s_or_b64 exec, exec, s[4:5]
	v_mov_b32_e32 v5, 0
	s_and_saveexec_b64 s[4:5], s[50:51]
	s_cbranch_execnz .LBB14_118
	s_branch .LBB14_119
.LBB14_210:
	v_lshlrev_b32_e32 v3, 3, v49
	ds_read_b64 v[6:7], v3
	ds_read_u8 v9, v2 offset:2048
	v_mov_b32_e32 v3, 0
	s_waitcnt lgkmcnt(1)
	v_lshl_add_u64 v[6:7], s[62:63], 0, v[6:7]
	v_lshl_add_u64 v[6:7], v[6:7], 0, v[2:3]
	s_waitcnt lgkmcnt(0)
	global_store_byte v[6:7], v9, off
	s_or_b64 exec, exec, s[4:5]
	s_and_saveexec_b64 s[4:5], s[28:29]
	s_cbranch_execz .LBB14_121
.LBB14_211:
	v_lshlrev_b32_e32 v3, 3, v47
	ds_read_b64 v[6:7], v3
	ds_read_u8 v9, v2 offset:3072
	v_mov_b32_e32 v3, 0
	s_waitcnt lgkmcnt(1)
	v_lshl_add_u64 v[6:7], s[62:63], 0, v[6:7]
	v_lshl_add_u64 v[6:7], v[6:7], 0, v[2:3]
	s_waitcnt lgkmcnt(0)
	global_store_byte v[6:7], v9, off offset:1024
	s_or_b64 exec, exec, s[4:5]
	s_and_saveexec_b64 s[4:5], s[30:31]
	s_cbranch_execz .LBB14_122
.LBB14_212:
	v_lshlrev_b32_e32 v3, 3, v46
	ds_read_b64 v[6:7], v3
	ds_read_u8 v9, v2 offset:4096
	v_mov_b32_e32 v3, 0
	s_waitcnt lgkmcnt(1)
	v_lshl_add_u64 v[6:7], s[62:63], 0, v[6:7]
	v_lshl_add_u64 v[6:7], v[6:7], 0, v[2:3]
	s_waitcnt lgkmcnt(0)
	global_store_byte v[6:7], v9, off offset:2048
	s_or_b64 exec, exec, s[4:5]
	s_and_saveexec_b64 s[4:5], s[34:35]
	s_cbranch_execz .LBB14_123
.LBB14_213:
	v_lshlrev_b32_e32 v3, 3, v45
	ds_read_b64 v[6:7], v3
	ds_read_u8 v9, v2 offset:5120
	v_mov_b32_e32 v3, 0
	s_waitcnt lgkmcnt(1)
	v_lshl_add_u64 v[6:7], s[62:63], 0, v[6:7]
	v_lshl_add_u64 v[6:7], v[6:7], 0, v[2:3]
	s_waitcnt lgkmcnt(0)
	global_store_byte v[6:7], v9, off offset:3072
	s_or_b64 exec, exec, s[4:5]
	s_and_saveexec_b64 s[4:5], s[36:37]
	s_cbranch_execz .LBB14_124
.LBB14_214:
	v_lshlrev_b32_e32 v3, 3, v43
	ds_read_b64 v[6:7], v3
	ds_read_u8 v3, v2 offset:6144
	v_mov_b32_e32 v15, 0
	s_waitcnt lgkmcnt(1)
	v_lshl_add_u64 v[6:7], s[62:63], 0, v[6:7]
	v_lshl_add_u64 v[6:7], v[6:7], 0, v[14:15]
	s_waitcnt lgkmcnt(0)
	global_store_byte v[6:7], v3, off
	s_or_b64 exec, exec, s[4:5]
	s_and_saveexec_b64 s[4:5], s[38:39]
	s_cbranch_execz .LBB14_125
.LBB14_215:
	v_lshlrev_b32_e32 v3, 3, v42
	ds_read_b64 v[6:7], v3
	ds_read_u8 v3, v2 offset:7168
	v_mov_b32_e32 v17, 0
	s_waitcnt lgkmcnt(1)
	v_lshl_add_u64 v[6:7], s[62:63], 0, v[6:7]
	v_lshl_add_u64 v[6:7], v[6:7], 0, v[16:17]
	s_waitcnt lgkmcnt(0)
	global_store_byte v[6:7], v3, off
	s_or_b64 exec, exec, s[4:5]
	s_and_saveexec_b64 s[4:5], s[40:41]
	s_cbranch_execz .LBB14_126
.LBB14_216:
	v_lshlrev_b32_e32 v3, 3, v40
	ds_read_b64 v[6:7], v3
	ds_read_u8 v3, v2 offset:8192
	v_mov_b32_e32 v19, 0
	s_waitcnt lgkmcnt(1)
	v_lshl_add_u64 v[6:7], s[62:63], 0, v[6:7]
	v_lshl_add_u64 v[6:7], v[6:7], 0, v[18:19]
	s_waitcnt lgkmcnt(0)
	global_store_byte v[6:7], v3, off
	s_or_b64 exec, exec, s[4:5]
	s_and_saveexec_b64 s[4:5], s[42:43]
	s_cbranch_execz .LBB14_127
.LBB14_217:
	v_lshlrev_b32_e32 v3, 3, v39
	ds_read_b64 v[6:7], v3
	ds_read_u8 v3, v2 offset:9216
	v_mov_b32_e32 v21, 0
	s_waitcnt lgkmcnt(1)
	v_lshl_add_u64 v[6:7], s[62:63], 0, v[6:7]
	v_lshl_add_u64 v[6:7], v[6:7], 0, v[20:21]
	s_waitcnt lgkmcnt(0)
	global_store_byte v[6:7], v3, off
	s_or_b64 exec, exec, s[4:5]
	s_and_saveexec_b64 s[4:5], s[44:45]
	s_cbranch_execz .LBB14_128
.LBB14_218:
	v_lshlrev_b32_e32 v3, 3, v34
	ds_read_b64 v[6:7], v3
	ds_read_u8 v3, v2 offset:10240
	v_mov_b32_e32 v23, 0
	s_waitcnt lgkmcnt(1)
	v_lshl_add_u64 v[6:7], s[62:63], 0, v[6:7]
	v_lshl_add_u64 v[6:7], v[6:7], 0, v[22:23]
	s_waitcnt lgkmcnt(0)
	global_store_byte v[6:7], v3, off
	s_or_b64 exec, exec, s[4:5]
	s_and_saveexec_b64 s[4:5], s[46:47]
	s_cbranch_execz .LBB14_129
.LBB14_219:
	v_lshlrev_b32_e32 v3, 3, v29
	ds_read_b64 v[6:7], v3
	ds_read_u8 v3, v2 offset:11264
	v_mov_b32_e32 v25, 0
	s_waitcnt lgkmcnt(1)
	v_lshl_add_u64 v[6:7], s[62:63], 0, v[6:7]
	v_lshl_add_u64 v[6:7], v[6:7], 0, v[24:25]
	s_waitcnt lgkmcnt(0)
	global_store_byte v[6:7], v3, off
	s_or_b64 exec, exec, s[4:5]
	s_and_saveexec_b64 s[4:5], s[48:49]
	s_cbranch_execz .LBB14_130
.LBB14_220:
	v_lshlrev_b32_e32 v3, 3, v4
	ds_read_b64 v[6:7], v3
	ds_read_u8 v3, v2 offset:12288
	v_mov_b32_e32 v27, 0
	s_waitcnt lgkmcnt(1)
	v_lshl_add_u64 v[6:7], s[62:63], 0, v[6:7]
	v_lshl_add_u64 v[6:7], v[6:7], 0, v[26:27]
	s_waitcnt lgkmcnt(0)
	global_store_byte v[6:7], v3, off
	s_or_b64 exec, exec, s[4:5]
	s_and_saveexec_b64 s[4:5], s[50:51]
	s_cbranch_execnz .LBB14_131
	s_branch .LBB14_132
	.section	.rodata,"a",@progbits
	.p2align	6, 0x0
	.amdhsa_kernel _ZN7rocprim17ROCPRIM_304000_NS6detail25onesweep_iteration_kernelINS1_34wrapped_radix_sort_onesweep_configINS0_14default_configEiN2at4cuda3cub6detail10OpaqueTypeILi1EEEEELb1EPKiPiPKSA_PSA_mNS0_19identity_decomposerEEEvT1_T2_T3_T4_jPT5_SO_PNS1_23onesweep_lookback_stateET6_jjj
		.amdhsa_group_segment_fixed_size 51200
		.amdhsa_private_segment_fixed_size 0
		.amdhsa_kernarg_size 336
		.amdhsa_user_sgpr_count 2
		.amdhsa_user_sgpr_dispatch_ptr 0
		.amdhsa_user_sgpr_queue_ptr 0
		.amdhsa_user_sgpr_kernarg_segment_ptr 1
		.amdhsa_user_sgpr_dispatch_id 0
		.amdhsa_user_sgpr_kernarg_preload_length 0
		.amdhsa_user_sgpr_kernarg_preload_offset 0
		.amdhsa_user_sgpr_private_segment_size 0
		.amdhsa_uses_dynamic_stack 0
		.amdhsa_enable_private_segment 0
		.amdhsa_system_sgpr_workgroup_id_x 1
		.amdhsa_system_sgpr_workgroup_id_y 0
		.amdhsa_system_sgpr_workgroup_id_z 0
		.amdhsa_system_sgpr_workgroup_info 0
		.amdhsa_system_vgpr_workitem_id 2
		.amdhsa_next_free_vgpr 64
		.amdhsa_next_free_sgpr 74
		.amdhsa_accum_offset 64
		.amdhsa_reserve_vcc 1
		.amdhsa_float_round_mode_32 0
		.amdhsa_float_round_mode_16_64 0
		.amdhsa_float_denorm_mode_32 3
		.amdhsa_float_denorm_mode_16_64 3
		.amdhsa_dx10_clamp 1
		.amdhsa_ieee_mode 1
		.amdhsa_fp16_overflow 0
		.amdhsa_tg_split 0
		.amdhsa_exception_fp_ieee_invalid_op 0
		.amdhsa_exception_fp_denorm_src 0
		.amdhsa_exception_fp_ieee_div_zero 0
		.amdhsa_exception_fp_ieee_overflow 0
		.amdhsa_exception_fp_ieee_underflow 0
		.amdhsa_exception_fp_ieee_inexact 0
		.amdhsa_exception_int_div_zero 0
	.end_amdhsa_kernel
	.section	.text._ZN7rocprim17ROCPRIM_304000_NS6detail25onesweep_iteration_kernelINS1_34wrapped_radix_sort_onesweep_configINS0_14default_configEiN2at4cuda3cub6detail10OpaqueTypeILi1EEEEELb1EPKiPiPKSA_PSA_mNS0_19identity_decomposerEEEvT1_T2_T3_T4_jPT5_SO_PNS1_23onesweep_lookback_stateET6_jjj,"axG",@progbits,_ZN7rocprim17ROCPRIM_304000_NS6detail25onesweep_iteration_kernelINS1_34wrapped_radix_sort_onesweep_configINS0_14default_configEiN2at4cuda3cub6detail10OpaqueTypeILi1EEEEELb1EPKiPiPKSA_PSA_mNS0_19identity_decomposerEEEvT1_T2_T3_T4_jPT5_SO_PNS1_23onesweep_lookback_stateET6_jjj,comdat
.Lfunc_end14:
	.size	_ZN7rocprim17ROCPRIM_304000_NS6detail25onesweep_iteration_kernelINS1_34wrapped_radix_sort_onesweep_configINS0_14default_configEiN2at4cuda3cub6detail10OpaqueTypeILi1EEEEELb1EPKiPiPKSA_PSA_mNS0_19identity_decomposerEEEvT1_T2_T3_T4_jPT5_SO_PNS1_23onesweep_lookback_stateET6_jjj, .Lfunc_end14-_ZN7rocprim17ROCPRIM_304000_NS6detail25onesweep_iteration_kernelINS1_34wrapped_radix_sort_onesweep_configINS0_14default_configEiN2at4cuda3cub6detail10OpaqueTypeILi1EEEEELb1EPKiPiPKSA_PSA_mNS0_19identity_decomposerEEEvT1_T2_T3_T4_jPT5_SO_PNS1_23onesweep_lookback_stateET6_jjj
                                        ; -- End function
	.section	.AMDGPU.csdata,"",@progbits
; Kernel info:
; codeLenInByte = 19240
; NumSgprs: 80
; NumVgprs: 64
; NumAgprs: 0
; TotalNumVgprs: 64
; ScratchSize: 0
; MemoryBound: 0
; FloatMode: 240
; IeeeMode: 1
; LDSByteSize: 51200 bytes/workgroup (compile time only)
; SGPRBlocks: 9
; VGPRBlocks: 7
; NumSGPRsForWavesPerEU: 80
; NumVGPRsForWavesPerEU: 64
; AccumOffset: 64
; Occupancy: 4
; WaveLimiterHint : 1
; COMPUTE_PGM_RSRC2:SCRATCH_EN: 0
; COMPUTE_PGM_RSRC2:USER_SGPR: 2
; COMPUTE_PGM_RSRC2:TRAP_HANDLER: 0
; COMPUTE_PGM_RSRC2:TGID_X_EN: 1
; COMPUTE_PGM_RSRC2:TGID_Y_EN: 0
; COMPUTE_PGM_RSRC2:TGID_Z_EN: 0
; COMPUTE_PGM_RSRC2:TIDIG_COMP_CNT: 2
; COMPUTE_PGM_RSRC3_GFX90A:ACCUM_OFFSET: 15
; COMPUTE_PGM_RSRC3_GFX90A:TG_SPLIT: 0
	.section	.text._ZN7rocprim17ROCPRIM_304000_NS6detail25onesweep_iteration_kernelINS1_34wrapped_radix_sort_onesweep_configINS0_14default_configEiN2at4cuda3cub6detail10OpaqueTypeILi1EEEEELb1EPiSC_PSA_SD_mNS0_19identity_decomposerEEEvT1_T2_T3_T4_jPT5_SK_PNS1_23onesweep_lookback_stateET6_jjj,"axG",@progbits,_ZN7rocprim17ROCPRIM_304000_NS6detail25onesweep_iteration_kernelINS1_34wrapped_radix_sort_onesweep_configINS0_14default_configEiN2at4cuda3cub6detail10OpaqueTypeILi1EEEEELb1EPiSC_PSA_SD_mNS0_19identity_decomposerEEEvT1_T2_T3_T4_jPT5_SK_PNS1_23onesweep_lookback_stateET6_jjj,comdat
	.protected	_ZN7rocprim17ROCPRIM_304000_NS6detail25onesweep_iteration_kernelINS1_34wrapped_radix_sort_onesweep_configINS0_14default_configEiN2at4cuda3cub6detail10OpaqueTypeILi1EEEEELb1EPiSC_PSA_SD_mNS0_19identity_decomposerEEEvT1_T2_T3_T4_jPT5_SK_PNS1_23onesweep_lookback_stateET6_jjj ; -- Begin function _ZN7rocprim17ROCPRIM_304000_NS6detail25onesweep_iteration_kernelINS1_34wrapped_radix_sort_onesweep_configINS0_14default_configEiN2at4cuda3cub6detail10OpaqueTypeILi1EEEEELb1EPiSC_PSA_SD_mNS0_19identity_decomposerEEEvT1_T2_T3_T4_jPT5_SK_PNS1_23onesweep_lookback_stateET6_jjj
	.globl	_ZN7rocprim17ROCPRIM_304000_NS6detail25onesweep_iteration_kernelINS1_34wrapped_radix_sort_onesweep_configINS0_14default_configEiN2at4cuda3cub6detail10OpaqueTypeILi1EEEEELb1EPiSC_PSA_SD_mNS0_19identity_decomposerEEEvT1_T2_T3_T4_jPT5_SK_PNS1_23onesweep_lookback_stateET6_jjj
	.p2align	8
	.type	_ZN7rocprim17ROCPRIM_304000_NS6detail25onesweep_iteration_kernelINS1_34wrapped_radix_sort_onesweep_configINS0_14default_configEiN2at4cuda3cub6detail10OpaqueTypeILi1EEEEELb1EPiSC_PSA_SD_mNS0_19identity_decomposerEEEvT1_T2_T3_T4_jPT5_SK_PNS1_23onesweep_lookback_stateET6_jjj,@function
_ZN7rocprim17ROCPRIM_304000_NS6detail25onesweep_iteration_kernelINS1_34wrapped_radix_sort_onesweep_configINS0_14default_configEiN2at4cuda3cub6detail10OpaqueTypeILi1EEEEELb1EPiSC_PSA_SD_mNS0_19identity_decomposerEEEvT1_T2_T3_T4_jPT5_SK_PNS1_23onesweep_lookback_stateET6_jjj: ; @_ZN7rocprim17ROCPRIM_304000_NS6detail25onesweep_iteration_kernelINS1_34wrapped_radix_sort_onesweep_configINS0_14default_configEiN2at4cuda3cub6detail10OpaqueTypeILi1EEEEELb1EPiSC_PSA_SD_mNS0_19identity_decomposerEEEvT1_T2_T3_T4_jPT5_SK_PNS1_23onesweep_lookback_stateET6_jjj
; %bb.0:
	s_load_dwordx4 s[68:71], s[0:1], 0x44
	s_load_dwordx8 s[56:63], s[0:1], 0x0
	s_load_dwordx4 s[64:67], s[0:1], 0x28
	s_load_dwordx2 s[72:73], s[0:1], 0x38
	s_mul_i32 s54, s2, 0x3000
	s_waitcnt lgkmcnt(0)
	s_cmp_ge_u32 s2, s70
	v_mbcnt_lo_u32_b32 v1, -1, 0
	s_cbranch_scc0 .LBB15_135
; %bb.1:
	s_load_dword s3, s[0:1], 0x20
	s_mul_i32 s6, s70, 0xffffd000
	s_mov_b32 s55, 0
	v_and_b32_e32 v2, 0x3ff, v0
	s_lshl_b64 s[4:5], s[54:55], 2
	s_waitcnt lgkmcnt(0)
	s_add_i32 s55, s6, s3
	s_add_u32 s4, s56, s4
	v_mbcnt_hi_u32_b32 v4, -1, v1
	v_and_b32_e32 v3, 0x3c0, v2
	v_mov_b32_e32 v5, 0
	s_addc_u32 s5, s57, s5
	v_mul_u32_u24_e32 v6, 12, v3
	v_lshlrev_b32_e32 v8, 2, v4
	v_mov_b32_e32 v9, v5
	v_lshl_add_u64 v[8:9], s[4:5], 0, v[8:9]
	v_lshlrev_b32_e32 v10, 2, v6
	v_mov_b32_e32 v11, v5
	v_or_b32_e32 v7, v4, v6
	v_lshl_add_u64 v[8:9], v[8:9], 0, v[10:11]
	v_cmp_gt_u32_e32 vcc, s55, v7
	v_bfrev_b32_e32 v13, 1
	v_bfrev_b32_e32 v3, 1
	s_and_saveexec_b64 s[4:5], vcc
	s_cbranch_execz .LBB15_3
; %bb.2:
	global_load_dword v3, v[8:9], off
.LBB15_3:
	s_or_b64 exec, exec, s[4:5]
	v_add_u32_e32 v10, 64, v7
	v_cmp_gt_u32_e64 s[52:53], s55, v10
	s_and_saveexec_b64 s[4:5], s[52:53]
	s_cbranch_execz .LBB15_5
; %bb.4:
	global_load_dword v13, v[8:9], off offset:256
.LBB15_5:
	s_or_b64 exec, exec, s[4:5]
	v_add_u32_e32 v10, 0x80, v7
	v_cmp_gt_u32_e64 s[4:5], s55, v10
	v_bfrev_b32_e32 v23, 1
	v_bfrev_b32_e32 v18, 1
	s_and_saveexec_b64 s[6:7], s[4:5]
	s_cbranch_execz .LBB15_7
; %bb.6:
	global_load_dword v18, v[8:9], off offset:512
.LBB15_7:
	s_or_b64 exec, exec, s[6:7]
	v_add_u32_e32 v10, 0xc0, v7
	v_cmp_gt_u32_e64 s[6:7], s55, v10
	s_and_saveexec_b64 s[8:9], s[6:7]
	s_cbranch_execz .LBB15_9
; %bb.8:
	global_load_dword v23, v[8:9], off offset:768
.LBB15_9:
	s_or_b64 exec, exec, s[8:9]
	v_add_u32_e32 v10, 0x100, v7
	v_cmp_gt_u32_e64 s[8:9], s55, v10
	v_bfrev_b32_e32 v34, 1
	v_bfrev_b32_e32 v29, 1
	s_and_saveexec_b64 s[10:11], s[8:9]
	s_cbranch_execz .LBB15_11
; %bb.10:
	global_load_dword v29, v[8:9], off offset:1024
.LBB15_11:
	;; [unrolled: 18-line block ×5, first 2 shown]
	s_or_b64 exec, exec, s[22:23]
	v_add_u32_e32 v7, 0x2c0, v7
	v_cmp_gt_u32_e64 s[22:23], s55, v7
	s_and_saveexec_b64 s[24:25], s[22:23]
	s_cbranch_execz .LBB15_25
; %bb.24:
	global_load_dword v12, v[8:9], off offset:2816
.LBB15_25:
	s_or_b64 exec, exec, s[24:25]
	s_load_dword s24, s[0:1], 0x5c
	s_load_dword s3, s[0:1], 0x50
	s_add_u32 s25, s0, 0x50
	s_addc_u32 s26, s1, 0
	v_mov_b32_e32 v9, 0
	s_waitcnt lgkmcnt(0)
	s_lshr_b32 s27, s24, 16
	s_cmp_lt_u32 s2, s3
	s_cselect_b32 s24, 12, 18
	s_add_u32 s24, s25, s24
	s_addc_u32 s25, s26, 0
	global_load_ushort v19, v9, s[24:25]
	s_waitcnt vmcnt(1)
	v_xor_b32_e32 v3, 0x7fffffff, v3
	s_lshl_b32 s24, -1, s69
	v_lshrrev_b32_e32 v15, s68, v3
	s_not_b32 s33, s24
	v_bfe_u32 v8, v0, 10, 10
	v_bfe_u32 v11, v0, 20, 10
	v_and_b32_e32 v22, s33, v15
	v_mad_u32_u24 v20, v11, s27, v8
	v_and_b32_e32 v8, 1, v22
	v_lshlrev_b32_e32 v11, 30, v22
	v_mov_b32_e32 v10, v9
	v_mov_b32_e32 v16, v9
	v_lshlrev_b32_e32 v15, 29, v22
	v_lshlrev_b32_e32 v17, 28, v22
	v_lshl_add_u64 v[42:43], v[8:9], 0, -1
	v_cmp_ne_u32_e64 s[24:25], 0, v8
	v_not_b32_e32 v8, v11
	v_mov_b32_e32 v14, v9
	v_mov_b32_e32 v24, v9
	v_lshlrev_b32_e32 v25, 27, v22
	v_cmp_gt_i64_e64 s[26:27], 0, v[10:11]
	v_not_b32_e32 v10, v15
	v_cmp_gt_i64_e64 s[30:31], 0, v[16:17]
	v_not_b32_e32 v11, v17
	v_xor_b32_e32 v17, s25, v43
	v_ashrrev_i32_e32 v8, 31, v8
	v_cmp_gt_i64_e64 s[28:29], 0, v[14:15]
	v_cmp_gt_i64_e64 s[34:35], 0, v[24:25]
	v_not_b32_e32 v14, v25
	v_xor_b32_e32 v24, s24, v42
	v_ashrrev_i32_e32 v10, 31, v10
	v_and_b32_e32 v17, exec_hi, v17
	v_xor_b32_e32 v25, s27, v8
	v_mov_b32_e32 v30, v9
	v_lshlrev_b32_e32 v31, 26, v22
	v_ashrrev_i32_e32 v11, 31, v11
	v_and_b32_e32 v24, exec_lo, v24
	v_xor_b32_e32 v8, s26, v8
	v_xor_b32_e32 v26, s29, v10
	v_and_b32_e32 v17, v17, v25
	v_lshlrev_b32_e32 v41, 25, v22
	v_cmp_gt_i64_e64 s[36:37], 0, v[30:31]
	v_not_b32_e32 v15, v31
	v_ashrrev_i32_e32 v14, 31, v14
	v_xor_b32_e32 v10, s28, v10
	v_xor_b32_e32 v30, s31, v11
	v_and_b32_e32 v8, v24, v8
	v_and_b32_e32 v17, v17, v26
	v_mov_b32_e32 v40, v9
	v_not_b32_e32 v16, v41
	v_ashrrev_i32_e32 v15, 31, v15
	v_xor_b32_e32 v31, s35, v14
	v_and_b32_e32 v8, v8, v10
	v_and_b32_e32 v10, v17, v30
	v_cmp_gt_i64_e64 s[38:39], 0, v[40:41]
	v_ashrrev_i32_e32 v16, 31, v16
	v_xor_b32_e32 v11, s30, v11
	v_xor_b32_e32 v33, s37, v15
	v_and_b32_e32 v10, v10, v31
	v_xor_b32_e32 v14, s34, v14
	v_xor_b32_e32 v35, s39, v16
	v_and_b32_e32 v8, v8, v11
	v_and_b32_e32 v10, v10, v33
	;; [unrolled: 1-line block ×4, first 2 shown]
	v_xor_b32_e32 v15, s36, v15
	v_xor_b32_e32 v16, s38, v16
	v_and_b32_e32 v8, v8, v15
	v_and_b32_e32 v8, v8, v16
	v_mul_u32_u24_e32 v7, 5, v2
	v_lshl_add_u32 v28, v22, 4, v22
	v_lshlrev_b32_e32 v7, 2, v7
	ds_write2_b32 v7, v9, v9 offset0:16 offset1:17
	ds_write2_b32 v7, v9, v9 offset0:18 offset1:19
	ds_write_b32 v7, v9 offset:80
	s_waitcnt lgkmcnt(0)
	s_barrier
	s_waitcnt lgkmcnt(0)
	; wave barrier
	s_waitcnt vmcnt(0)
	v_mad_u64_u32 v[10:11], s[24:25], v20, v19, v[2:3]
	v_lshrrev_b32_e32 v26, 6, v10
	v_lshlrev_b32_e32 v11, 24, v22
	v_mov_b32_e32 v10, v9
	v_cmp_gt_i64_e64 s[24:25], 0, v[10:11]
	v_not_b32_e32 v10, v11
	v_ashrrev_i32_e32 v10, 31, v10
	v_xor_b32_e32 v11, s25, v10
	v_xor_b32_e32 v10, s24, v10
	v_and_b32_e32 v10, v8, v10
	v_and_b32_e32 v11, v14, v11
	v_mbcnt_lo_u32_b32 v8, v10, 0
	v_mbcnt_hi_u32_b32 v14, v11, v8
	v_cmp_eq_u32_e64 s[24:25], 0, v14
	v_cmp_ne_u64_e64 s[26:27], 0, v[10:11]
	v_add_lshl_u32 v16, v26, v28, 2
	s_and_b64 s[26:27], s[26:27], s[24:25]
	s_and_saveexec_b64 s[24:25], s[26:27]
	s_cbranch_execz .LBB15_27
; %bb.26:
	v_bcnt_u32_b32 v8, v10, 0
	v_bcnt_u32_b32 v8, v11, v8
	ds_write_b32 v16, v8 offset:64
.LBB15_27:
	s_or_b64 exec, exec, s[24:25]
	v_xor_b32_e32 v13, 0x7fffffff, v13
	v_lshrrev_b32_e32 v8, s68, v13
	v_and_b32_e32 v19, s33, v8
	v_lshl_add_u32 v8, v19, 4, v19
	v_add_lshl_u32 v17, v26, v8, 2
	v_and_b32_e32 v8, 1, v19
	v_lshl_add_u64 v[10:11], v[8:9], 0, -1
	v_cmp_ne_u32_e64 s[24:25], 0, v8
	; wave barrier
	s_nop 1
	v_xor_b32_e32 v10, s24, v10
	v_xor_b32_e32 v8, s25, v11
	v_and_b32_e32 v20, exec_lo, v10
	v_lshlrev_b32_e32 v11, 30, v19
	v_mov_b32_e32 v10, v9
	v_cmp_gt_i64_e64 s[24:25], 0, v[10:11]
	v_not_b32_e32 v10, v11
	v_ashrrev_i32_e32 v10, 31, v10
	v_and_b32_e32 v8, exec_hi, v8
	v_xor_b32_e32 v11, s25, v10
	v_xor_b32_e32 v10, s24, v10
	v_and_b32_e32 v8, v8, v11
	v_and_b32_e32 v20, v20, v10
	v_lshlrev_b32_e32 v11, 29, v19
	v_mov_b32_e32 v10, v9
	v_cmp_gt_i64_e64 s[24:25], 0, v[10:11]
	v_not_b32_e32 v10, v11
	v_ashrrev_i32_e32 v10, 31, v10
	v_xor_b32_e32 v11, s25, v10
	v_xor_b32_e32 v10, s24, v10
	v_and_b32_e32 v8, v8, v11
	v_and_b32_e32 v20, v20, v10
	v_lshlrev_b32_e32 v11, 28, v19
	v_mov_b32_e32 v10, v9
	v_cmp_gt_i64_e64 s[24:25], 0, v[10:11]
	v_not_b32_e32 v10, v11
	v_ashrrev_i32_e32 v10, 31, v10
	;; [unrolled: 9-line block ×5, first 2 shown]
	v_xor_b32_e32 v11, s25, v10
	v_xor_b32_e32 v10, s24, v10
	v_and_b32_e32 v8, v8, v11
	v_lshlrev_b32_e32 v11, 24, v19
	v_and_b32_e32 v20, v20, v10
	v_mov_b32_e32 v10, v9
	v_not_b32_e32 v9, v11
	v_cmp_gt_i64_e64 s[24:25], 0, v[10:11]
	v_ashrrev_i32_e32 v9, 31, v9
	ds_read_b32 v15, v17 offset:64
	v_xor_b32_e32 v10, s25, v9
	v_xor_b32_e32 v11, s24, v9
	v_and_b32_e32 v9, v8, v10
	v_and_b32_e32 v8, v20, v11
	v_mbcnt_lo_u32_b32 v10, v8, 0
	v_mbcnt_hi_u32_b32 v19, v9, v10
	v_cmp_eq_u32_e64 s[24:25], 0, v19
	v_cmp_ne_u64_e64 s[26:27], 0, v[8:9]
	s_and_b64 s[26:27], s[26:27], s[24:25]
	; wave barrier
	s_and_saveexec_b64 s[24:25], s[26:27]
	s_cbranch_execz .LBB15_29
; %bb.28:
	v_bcnt_u32_b32 v8, v8, 0
	v_bcnt_u32_b32 v8, v9, v8
	s_waitcnt lgkmcnt(0)
	v_add_u32_e32 v8, v15, v8
	ds_write_b32 v17, v8 offset:64
.LBB15_29:
	s_or_b64 exec, exec, s[24:25]
	v_xor_b32_e32 v18, 0x7fffffff, v18
	v_lshrrev_b32_e32 v8, s68, v18
	v_and_b32_e32 v24, s33, v8
	v_lshl_add_u32 v8, v24, 4, v24
	v_add_lshl_u32 v22, v26, v8, 2
	v_and_b32_e32 v8, 1, v24
	v_mov_b32_e32 v9, 0
	v_lshl_add_u64 v[10:11], v[8:9], 0, -1
	v_cmp_ne_u32_e64 s[24:25], 0, v8
	; wave barrier
	s_nop 1
	v_xor_b32_e32 v10, s24, v10
	v_xor_b32_e32 v8, s25, v11
	v_and_b32_e32 v25, exec_lo, v10
	v_lshlrev_b32_e32 v11, 30, v24
	v_mov_b32_e32 v10, v9
	v_cmp_gt_i64_e64 s[24:25], 0, v[10:11]
	v_not_b32_e32 v10, v11
	v_ashrrev_i32_e32 v10, 31, v10
	v_and_b32_e32 v8, exec_hi, v8
	v_xor_b32_e32 v11, s25, v10
	v_xor_b32_e32 v10, s24, v10
	v_and_b32_e32 v8, v8, v11
	v_and_b32_e32 v25, v25, v10
	v_lshlrev_b32_e32 v11, 29, v24
	v_mov_b32_e32 v10, v9
	v_cmp_gt_i64_e64 s[24:25], 0, v[10:11]
	v_not_b32_e32 v10, v11
	v_ashrrev_i32_e32 v10, 31, v10
	v_xor_b32_e32 v11, s25, v10
	v_xor_b32_e32 v10, s24, v10
	v_and_b32_e32 v8, v8, v11
	v_and_b32_e32 v25, v25, v10
	v_lshlrev_b32_e32 v11, 28, v24
	v_mov_b32_e32 v10, v9
	v_cmp_gt_i64_e64 s[24:25], 0, v[10:11]
	v_not_b32_e32 v10, v11
	v_ashrrev_i32_e32 v10, 31, v10
	;; [unrolled: 9-line block ×6, first 2 shown]
	v_xor_b32_e32 v11, s25, v10
	v_xor_b32_e32 v10, s24, v10
	ds_read_b32 v20, v22 offset:64
	v_and_b32_e32 v10, v25, v10
	v_and_b32_e32 v11, v8, v11
	v_mbcnt_lo_u32_b32 v8, v10, 0
	v_mbcnt_hi_u32_b32 v24, v11, v8
	v_cmp_eq_u32_e64 s[24:25], 0, v24
	v_cmp_ne_u64_e64 s[26:27], 0, v[10:11]
	s_and_b64 s[26:27], s[26:27], s[24:25]
	; wave barrier
	s_and_saveexec_b64 s[24:25], s[26:27]
	s_cbranch_execz .LBB15_31
; %bb.30:
	v_bcnt_u32_b32 v8, v10, 0
	v_bcnt_u32_b32 v8, v11, v8
	s_waitcnt lgkmcnt(0)
	v_add_u32_e32 v8, v20, v8
	ds_write_b32 v22, v8 offset:64
.LBB15_31:
	s_or_b64 exec, exec, s[24:25]
	v_xor_b32_e32 v23, 0x7fffffff, v23
	v_lshrrev_b32_e32 v8, s68, v23
	v_and_b32_e32 v30, s33, v8
	v_lshl_add_u32 v8, v30, 4, v30
	v_add_lshl_u32 v28, v26, v8, 2
	v_and_b32_e32 v8, 1, v30
	v_lshl_add_u64 v[10:11], v[8:9], 0, -1
	v_cmp_ne_u32_e64 s[24:25], 0, v8
	; wave barrier
	s_nop 1
	v_xor_b32_e32 v10, s24, v10
	v_xor_b32_e32 v8, s25, v11
	v_and_b32_e32 v31, exec_lo, v10
	v_lshlrev_b32_e32 v11, 30, v30
	v_mov_b32_e32 v10, v9
	v_cmp_gt_i64_e64 s[24:25], 0, v[10:11]
	v_not_b32_e32 v10, v11
	v_ashrrev_i32_e32 v10, 31, v10
	v_and_b32_e32 v8, exec_hi, v8
	v_xor_b32_e32 v11, s25, v10
	v_xor_b32_e32 v10, s24, v10
	v_and_b32_e32 v8, v8, v11
	v_and_b32_e32 v31, v31, v10
	v_lshlrev_b32_e32 v11, 29, v30
	v_mov_b32_e32 v10, v9
	v_cmp_gt_i64_e64 s[24:25], 0, v[10:11]
	v_not_b32_e32 v10, v11
	v_ashrrev_i32_e32 v10, 31, v10
	v_xor_b32_e32 v11, s25, v10
	v_xor_b32_e32 v10, s24, v10
	v_and_b32_e32 v8, v8, v11
	v_and_b32_e32 v31, v31, v10
	v_lshlrev_b32_e32 v11, 28, v30
	v_mov_b32_e32 v10, v9
	v_cmp_gt_i64_e64 s[24:25], 0, v[10:11]
	v_not_b32_e32 v10, v11
	v_ashrrev_i32_e32 v10, 31, v10
	;; [unrolled: 9-line block ×5, first 2 shown]
	v_xor_b32_e32 v11, s25, v10
	v_xor_b32_e32 v10, s24, v10
	v_and_b32_e32 v8, v8, v11
	v_lshlrev_b32_e32 v11, 24, v30
	v_and_b32_e32 v31, v31, v10
	v_mov_b32_e32 v10, v9
	v_not_b32_e32 v9, v11
	v_cmp_gt_i64_e64 s[24:25], 0, v[10:11]
	v_ashrrev_i32_e32 v9, 31, v9
	ds_read_b32 v25, v28 offset:64
	v_xor_b32_e32 v10, s25, v9
	v_xor_b32_e32 v11, s24, v9
	v_and_b32_e32 v9, v8, v10
	v_and_b32_e32 v8, v31, v11
	v_mbcnt_lo_u32_b32 v10, v8, 0
	v_mbcnt_hi_u32_b32 v30, v9, v10
	v_cmp_eq_u32_e64 s[24:25], 0, v30
	v_cmp_ne_u64_e64 s[26:27], 0, v[8:9]
	s_and_b64 s[26:27], s[26:27], s[24:25]
	; wave barrier
	s_and_saveexec_b64 s[24:25], s[26:27]
	s_cbranch_execz .LBB15_33
; %bb.32:
	v_bcnt_u32_b32 v8, v8, 0
	v_bcnt_u32_b32 v8, v9, v8
	s_waitcnt lgkmcnt(0)
	v_add_u32_e32 v8, v25, v8
	ds_write_b32 v28, v8 offset:64
.LBB15_33:
	s_or_b64 exec, exec, s[24:25]
	v_xor_b32_e32 v29, 0x7fffffff, v29
	v_lshrrev_b32_e32 v8, s68, v29
	v_and_b32_e32 v35, s33, v8
	v_lshl_add_u32 v8, v35, 4, v35
	v_add_lshl_u32 v33, v26, v8, 2
	v_and_b32_e32 v8, 1, v35
	v_mov_b32_e32 v9, 0
	v_lshl_add_u64 v[10:11], v[8:9], 0, -1
	v_cmp_ne_u32_e64 s[24:25], 0, v8
	; wave barrier
	s_nop 1
	v_xor_b32_e32 v10, s24, v10
	v_xor_b32_e32 v8, s25, v11
	v_and_b32_e32 v37, exec_lo, v10
	v_lshlrev_b32_e32 v11, 30, v35
	v_mov_b32_e32 v10, v9
	v_cmp_gt_i64_e64 s[24:25], 0, v[10:11]
	v_not_b32_e32 v10, v11
	v_ashrrev_i32_e32 v10, 31, v10
	v_and_b32_e32 v8, exec_hi, v8
	v_xor_b32_e32 v11, s25, v10
	v_xor_b32_e32 v10, s24, v10
	v_and_b32_e32 v8, v8, v11
	v_and_b32_e32 v37, v37, v10
	v_lshlrev_b32_e32 v11, 29, v35
	v_mov_b32_e32 v10, v9
	v_cmp_gt_i64_e64 s[24:25], 0, v[10:11]
	v_not_b32_e32 v10, v11
	v_ashrrev_i32_e32 v10, 31, v10
	v_xor_b32_e32 v11, s25, v10
	v_xor_b32_e32 v10, s24, v10
	v_and_b32_e32 v8, v8, v11
	v_and_b32_e32 v37, v37, v10
	v_lshlrev_b32_e32 v11, 28, v35
	v_mov_b32_e32 v10, v9
	v_cmp_gt_i64_e64 s[24:25], 0, v[10:11]
	v_not_b32_e32 v10, v11
	v_ashrrev_i32_e32 v10, 31, v10
	;; [unrolled: 9-line block ×6, first 2 shown]
	v_xor_b32_e32 v11, s25, v10
	v_xor_b32_e32 v10, s24, v10
	ds_read_b32 v31, v33 offset:64
	v_and_b32_e32 v10, v37, v10
	v_and_b32_e32 v11, v8, v11
	v_mbcnt_lo_u32_b32 v8, v10, 0
	v_mbcnt_hi_u32_b32 v35, v11, v8
	v_cmp_eq_u32_e64 s[24:25], 0, v35
	v_cmp_ne_u64_e64 s[26:27], 0, v[10:11]
	s_and_b64 s[26:27], s[26:27], s[24:25]
	; wave barrier
	s_and_saveexec_b64 s[24:25], s[26:27]
	s_cbranch_execz .LBB15_35
; %bb.34:
	v_bcnt_u32_b32 v8, v10, 0
	v_bcnt_u32_b32 v8, v11, v8
	s_waitcnt lgkmcnt(0)
	v_add_u32_e32 v8, v31, v8
	ds_write_b32 v33, v8 offset:64
.LBB15_35:
	s_or_b64 exec, exec, s[24:25]
	v_xor_b32_e32 v34, 0x7fffffff, v34
	v_lshrrev_b32_e32 v8, s68, v34
	v_and_b32_e32 v40, s33, v8
	v_lshl_add_u32 v8, v40, 4, v40
	v_add_lshl_u32 v38, v26, v8, 2
	v_and_b32_e32 v8, 1, v40
	v_lshl_add_u64 v[10:11], v[8:9], 0, -1
	v_cmp_ne_u32_e64 s[24:25], 0, v8
	; wave barrier
	s_nop 1
	v_xor_b32_e32 v10, s24, v10
	v_xor_b32_e32 v8, s25, v11
	v_and_b32_e32 v41, exec_lo, v10
	v_lshlrev_b32_e32 v11, 30, v40
	v_mov_b32_e32 v10, v9
	v_cmp_gt_i64_e64 s[24:25], 0, v[10:11]
	v_not_b32_e32 v10, v11
	v_ashrrev_i32_e32 v10, 31, v10
	v_and_b32_e32 v8, exec_hi, v8
	v_xor_b32_e32 v11, s25, v10
	v_xor_b32_e32 v10, s24, v10
	v_and_b32_e32 v8, v8, v11
	v_and_b32_e32 v41, v41, v10
	v_lshlrev_b32_e32 v11, 29, v40
	v_mov_b32_e32 v10, v9
	v_cmp_gt_i64_e64 s[24:25], 0, v[10:11]
	v_not_b32_e32 v10, v11
	v_ashrrev_i32_e32 v10, 31, v10
	v_xor_b32_e32 v11, s25, v10
	v_xor_b32_e32 v10, s24, v10
	v_and_b32_e32 v8, v8, v11
	v_and_b32_e32 v41, v41, v10
	v_lshlrev_b32_e32 v11, 28, v40
	v_mov_b32_e32 v10, v9
	v_cmp_gt_i64_e64 s[24:25], 0, v[10:11]
	v_not_b32_e32 v10, v11
	v_ashrrev_i32_e32 v10, 31, v10
	;; [unrolled: 9-line block ×5, first 2 shown]
	v_xor_b32_e32 v11, s25, v10
	v_xor_b32_e32 v10, s24, v10
	v_and_b32_e32 v8, v8, v11
	v_lshlrev_b32_e32 v11, 24, v40
	v_and_b32_e32 v41, v41, v10
	v_mov_b32_e32 v10, v9
	v_not_b32_e32 v9, v11
	v_cmp_gt_i64_e64 s[24:25], 0, v[10:11]
	v_ashrrev_i32_e32 v9, 31, v9
	ds_read_b32 v37, v38 offset:64
	v_xor_b32_e32 v10, s25, v9
	v_xor_b32_e32 v11, s24, v9
	v_and_b32_e32 v9, v8, v10
	v_and_b32_e32 v8, v41, v11
	v_mbcnt_lo_u32_b32 v10, v8, 0
	v_mbcnt_hi_u32_b32 v40, v9, v10
	v_cmp_eq_u32_e64 s[24:25], 0, v40
	v_cmp_ne_u64_e64 s[26:27], 0, v[8:9]
	s_and_b64 s[26:27], s[26:27], s[24:25]
	; wave barrier
	s_and_saveexec_b64 s[24:25], s[26:27]
	s_cbranch_execz .LBB15_37
; %bb.36:
	v_bcnt_u32_b32 v8, v8, 0
	v_bcnt_u32_b32 v8, v9, v8
	s_waitcnt lgkmcnt(0)
	v_add_u32_e32 v8, v37, v8
	ds_write_b32 v38, v8 offset:64
.LBB15_37:
	s_or_b64 exec, exec, s[24:25]
	v_xor_b32_e32 v39, 0x7fffffff, v39
	v_lshrrev_b32_e32 v8, s68, v39
	v_and_b32_e32 v43, s33, v8
	v_lshl_add_u32 v8, v43, 4, v43
	v_add_lshl_u32 v42, v26, v8, 2
	v_and_b32_e32 v8, 1, v43
	v_mov_b32_e32 v9, 0
	v_lshl_add_u64 v[10:11], v[8:9], 0, -1
	v_cmp_ne_u32_e64 s[24:25], 0, v8
	; wave barrier
	s_nop 1
	v_xor_b32_e32 v10, s24, v10
	v_xor_b32_e32 v8, s25, v11
	v_and_b32_e32 v44, exec_lo, v10
	v_lshlrev_b32_e32 v11, 30, v43
	v_mov_b32_e32 v10, v9
	v_cmp_gt_i64_e64 s[24:25], 0, v[10:11]
	v_not_b32_e32 v10, v11
	v_ashrrev_i32_e32 v10, 31, v10
	v_and_b32_e32 v8, exec_hi, v8
	v_xor_b32_e32 v11, s25, v10
	v_xor_b32_e32 v10, s24, v10
	v_and_b32_e32 v8, v8, v11
	v_and_b32_e32 v44, v44, v10
	v_lshlrev_b32_e32 v11, 29, v43
	v_mov_b32_e32 v10, v9
	v_cmp_gt_i64_e64 s[24:25], 0, v[10:11]
	v_not_b32_e32 v10, v11
	v_ashrrev_i32_e32 v10, 31, v10
	v_xor_b32_e32 v11, s25, v10
	v_xor_b32_e32 v10, s24, v10
	v_and_b32_e32 v8, v8, v11
	v_and_b32_e32 v44, v44, v10
	v_lshlrev_b32_e32 v11, 28, v43
	v_mov_b32_e32 v10, v9
	v_cmp_gt_i64_e64 s[24:25], 0, v[10:11]
	v_not_b32_e32 v10, v11
	v_ashrrev_i32_e32 v10, 31, v10
	;; [unrolled: 9-line block ×6, first 2 shown]
	v_xor_b32_e32 v11, s25, v10
	v_xor_b32_e32 v10, s24, v10
	ds_read_b32 v41, v42 offset:64
	v_and_b32_e32 v10, v44, v10
	v_and_b32_e32 v11, v8, v11
	v_mbcnt_lo_u32_b32 v8, v10, 0
	v_mbcnt_hi_u32_b32 v44, v11, v8
	v_cmp_eq_u32_e64 s[24:25], 0, v44
	v_cmp_ne_u64_e64 s[26:27], 0, v[10:11]
	s_and_b64 s[26:27], s[26:27], s[24:25]
	; wave barrier
	s_and_saveexec_b64 s[24:25], s[26:27]
	s_cbranch_execz .LBB15_39
; %bb.38:
	v_bcnt_u32_b32 v8, v10, 0
	v_bcnt_u32_b32 v8, v11, v8
	s_waitcnt lgkmcnt(0)
	v_add_u32_e32 v8, v41, v8
	ds_write_b32 v42, v8 offset:64
.LBB15_39:
	s_or_b64 exec, exec, s[24:25]
	v_xor_b32_e32 v43, 0x7fffffff, v36
	v_lshrrev_b32_e32 v8, s68, v43
	v_and_b32_e32 v46, s33, v8
	v_lshl_add_u32 v8, v46, 4, v46
	v_add_lshl_u32 v45, v26, v8, 2
	v_and_b32_e32 v8, 1, v46
	v_lshl_add_u64 v[10:11], v[8:9], 0, -1
	v_cmp_ne_u32_e64 s[24:25], 0, v8
	; wave barrier
	s_nop 1
	v_xor_b32_e32 v10, s24, v10
	v_xor_b32_e32 v8, s25, v11
	v_and_b32_e32 v47, exec_lo, v10
	v_lshlrev_b32_e32 v11, 30, v46
	v_mov_b32_e32 v10, v9
	v_cmp_gt_i64_e64 s[24:25], 0, v[10:11]
	v_not_b32_e32 v10, v11
	v_ashrrev_i32_e32 v10, 31, v10
	v_and_b32_e32 v8, exec_hi, v8
	v_xor_b32_e32 v11, s25, v10
	v_xor_b32_e32 v10, s24, v10
	v_and_b32_e32 v8, v8, v11
	v_and_b32_e32 v47, v47, v10
	v_lshlrev_b32_e32 v11, 29, v46
	v_mov_b32_e32 v10, v9
	v_cmp_gt_i64_e64 s[24:25], 0, v[10:11]
	v_not_b32_e32 v10, v11
	v_ashrrev_i32_e32 v10, 31, v10
	v_xor_b32_e32 v11, s25, v10
	v_xor_b32_e32 v10, s24, v10
	v_and_b32_e32 v8, v8, v11
	v_and_b32_e32 v47, v47, v10
	v_lshlrev_b32_e32 v11, 28, v46
	v_mov_b32_e32 v10, v9
	v_cmp_gt_i64_e64 s[24:25], 0, v[10:11]
	v_not_b32_e32 v10, v11
	v_ashrrev_i32_e32 v10, 31, v10
	;; [unrolled: 9-line block ×5, first 2 shown]
	v_xor_b32_e32 v11, s25, v10
	v_xor_b32_e32 v10, s24, v10
	v_and_b32_e32 v8, v8, v11
	v_lshlrev_b32_e32 v11, 24, v46
	v_and_b32_e32 v47, v47, v10
	v_mov_b32_e32 v10, v9
	v_not_b32_e32 v9, v11
	v_cmp_gt_i64_e64 s[24:25], 0, v[10:11]
	v_ashrrev_i32_e32 v9, 31, v9
	ds_read_b32 v36, v45 offset:64
	v_xor_b32_e32 v10, s25, v9
	v_xor_b32_e32 v11, s24, v9
	v_and_b32_e32 v9, v8, v10
	v_and_b32_e32 v8, v47, v11
	v_mbcnt_lo_u32_b32 v10, v8, 0
	v_mbcnt_hi_u32_b32 v47, v9, v10
	v_cmp_eq_u32_e64 s[24:25], 0, v47
	v_cmp_ne_u64_e64 s[26:27], 0, v[8:9]
	s_and_b64 s[26:27], s[26:27], s[24:25]
	; wave barrier
	s_and_saveexec_b64 s[24:25], s[26:27]
	s_cbranch_execz .LBB15_41
; %bb.40:
	v_bcnt_u32_b32 v8, v8, 0
	v_bcnt_u32_b32 v8, v9, v8
	s_waitcnt lgkmcnt(0)
	v_add_u32_e32 v8, v36, v8
	ds_write_b32 v45, v8 offset:64
.LBB15_41:
	s_or_b64 exec, exec, s[24:25]
	v_xor_b32_e32 v46, 0x7fffffff, v32
	v_lshrrev_b32_e32 v8, s68, v46
	v_and_b32_e32 v49, s33, v8
	v_lshl_add_u32 v8, v49, 4, v49
	v_add_lshl_u32 v32, v26, v8, 2
	v_and_b32_e32 v8, 1, v49
	v_mov_b32_e32 v9, 0
	v_lshl_add_u64 v[10:11], v[8:9], 0, -1
	v_cmp_ne_u32_e64 s[24:25], 0, v8
	; wave barrier
	s_nop 1
	v_xor_b32_e32 v10, s24, v10
	v_xor_b32_e32 v8, s25, v11
	v_and_b32_e32 v50, exec_lo, v10
	v_lshlrev_b32_e32 v11, 30, v49
	v_mov_b32_e32 v10, v9
	v_cmp_gt_i64_e64 s[24:25], 0, v[10:11]
	v_not_b32_e32 v10, v11
	v_ashrrev_i32_e32 v10, 31, v10
	v_and_b32_e32 v8, exec_hi, v8
	v_xor_b32_e32 v11, s25, v10
	v_xor_b32_e32 v10, s24, v10
	v_and_b32_e32 v8, v8, v11
	v_and_b32_e32 v50, v50, v10
	v_lshlrev_b32_e32 v11, 29, v49
	v_mov_b32_e32 v10, v9
	v_cmp_gt_i64_e64 s[24:25], 0, v[10:11]
	v_not_b32_e32 v10, v11
	v_ashrrev_i32_e32 v10, 31, v10
	v_xor_b32_e32 v11, s25, v10
	v_xor_b32_e32 v10, s24, v10
	v_and_b32_e32 v8, v8, v11
	v_and_b32_e32 v50, v50, v10
	v_lshlrev_b32_e32 v11, 28, v49
	v_mov_b32_e32 v10, v9
	v_cmp_gt_i64_e64 s[24:25], 0, v[10:11]
	v_not_b32_e32 v10, v11
	v_ashrrev_i32_e32 v10, 31, v10
	;; [unrolled: 9-line block ×6, first 2 shown]
	v_xor_b32_e32 v11, s25, v10
	v_xor_b32_e32 v10, s24, v10
	ds_read_b32 v48, v32 offset:64
	v_and_b32_e32 v10, v50, v10
	v_and_b32_e32 v11, v8, v11
	v_mbcnt_lo_u32_b32 v8, v10, 0
	v_mbcnt_hi_u32_b32 v50, v11, v8
	v_cmp_eq_u32_e64 s[24:25], 0, v50
	v_cmp_ne_u64_e64 s[26:27], 0, v[10:11]
	s_and_b64 s[26:27], s[26:27], s[24:25]
	; wave barrier
	s_and_saveexec_b64 s[24:25], s[26:27]
	s_cbranch_execz .LBB15_43
; %bb.42:
	v_bcnt_u32_b32 v8, v10, 0
	v_bcnt_u32_b32 v8, v11, v8
	s_waitcnt lgkmcnt(0)
	v_add_u32_e32 v8, v48, v8
	ds_write_b32 v32, v8 offset:64
.LBB15_43:
	s_or_b64 exec, exec, s[24:25]
	v_xor_b32_e32 v49, 0x7fffffff, v27
	v_lshrrev_b32_e32 v8, s68, v49
	v_and_b32_e32 v52, s33, v8
	v_lshl_add_u32 v8, v52, 4, v52
	v_add_lshl_u32 v27, v26, v8, 2
	v_and_b32_e32 v8, 1, v52
	v_lshl_add_u64 v[10:11], v[8:9], 0, -1
	v_cmp_ne_u32_e64 s[24:25], 0, v8
	; wave barrier
	s_nop 1
	v_xor_b32_e32 v10, s24, v10
	v_xor_b32_e32 v8, s25, v11
	v_and_b32_e32 v53, exec_lo, v10
	v_lshlrev_b32_e32 v11, 30, v52
	v_mov_b32_e32 v10, v9
	v_cmp_gt_i64_e64 s[24:25], 0, v[10:11]
	v_not_b32_e32 v10, v11
	v_ashrrev_i32_e32 v10, 31, v10
	v_and_b32_e32 v8, exec_hi, v8
	v_xor_b32_e32 v11, s25, v10
	v_xor_b32_e32 v10, s24, v10
	v_and_b32_e32 v8, v8, v11
	v_and_b32_e32 v53, v53, v10
	v_lshlrev_b32_e32 v11, 29, v52
	v_mov_b32_e32 v10, v9
	v_cmp_gt_i64_e64 s[24:25], 0, v[10:11]
	v_not_b32_e32 v10, v11
	v_ashrrev_i32_e32 v10, 31, v10
	v_xor_b32_e32 v11, s25, v10
	v_xor_b32_e32 v10, s24, v10
	v_and_b32_e32 v8, v8, v11
	v_and_b32_e32 v53, v53, v10
	v_lshlrev_b32_e32 v11, 28, v52
	v_mov_b32_e32 v10, v9
	v_cmp_gt_i64_e64 s[24:25], 0, v[10:11]
	v_not_b32_e32 v10, v11
	v_ashrrev_i32_e32 v10, 31, v10
	;; [unrolled: 9-line block ×5, first 2 shown]
	v_xor_b32_e32 v11, s25, v10
	v_xor_b32_e32 v10, s24, v10
	v_and_b32_e32 v8, v8, v11
	v_lshlrev_b32_e32 v11, 24, v52
	v_and_b32_e32 v53, v53, v10
	v_mov_b32_e32 v10, v9
	v_not_b32_e32 v9, v11
	v_cmp_gt_i64_e64 s[24:25], 0, v[10:11]
	v_ashrrev_i32_e32 v9, 31, v9
	ds_read_b32 v51, v27 offset:64
	v_xor_b32_e32 v10, s25, v9
	v_xor_b32_e32 v11, s24, v9
	v_and_b32_e32 v9, v8, v10
	v_and_b32_e32 v8, v53, v11
	v_mbcnt_lo_u32_b32 v10, v8, 0
	v_mbcnt_hi_u32_b32 v53, v9, v10
	v_cmp_eq_u32_e64 s[24:25], 0, v53
	v_cmp_ne_u64_e64 s[26:27], 0, v[8:9]
	s_and_b64 s[26:27], s[26:27], s[24:25]
	; wave barrier
	s_and_saveexec_b64 s[24:25], s[26:27]
	s_cbranch_execz .LBB15_45
; %bb.44:
	v_bcnt_u32_b32 v8, v8, 0
	v_bcnt_u32_b32 v8, v9, v8
	s_waitcnt lgkmcnt(0)
	v_add_u32_e32 v8, v51, v8
	ds_write_b32 v27, v8 offset:64
.LBB15_45:
	s_or_b64 exec, exec, s[24:25]
	v_xor_b32_e32 v52, 0x7fffffff, v21
	v_lshrrev_b32_e32 v8, s68, v52
	v_and_b32_e32 v55, s33, v8
	v_lshl_add_u32 v8, v55, 4, v55
	v_add_lshl_u32 v21, v26, v8, 2
	v_and_b32_e32 v8, 1, v55
	v_mov_b32_e32 v9, 0
	v_lshl_add_u64 v[10:11], v[8:9], 0, -1
	v_cmp_ne_u32_e64 s[24:25], 0, v8
	; wave barrier
	s_nop 1
	v_xor_b32_e32 v10, s24, v10
	v_xor_b32_e32 v8, s25, v11
	v_and_b32_e32 v56, exec_lo, v10
	v_lshlrev_b32_e32 v11, 30, v55
	v_mov_b32_e32 v10, v9
	v_cmp_gt_i64_e64 s[24:25], 0, v[10:11]
	v_not_b32_e32 v10, v11
	v_ashrrev_i32_e32 v10, 31, v10
	v_and_b32_e32 v8, exec_hi, v8
	v_xor_b32_e32 v11, s25, v10
	v_xor_b32_e32 v10, s24, v10
	v_and_b32_e32 v8, v8, v11
	v_and_b32_e32 v56, v56, v10
	v_lshlrev_b32_e32 v11, 29, v55
	v_mov_b32_e32 v10, v9
	v_cmp_gt_i64_e64 s[24:25], 0, v[10:11]
	v_not_b32_e32 v10, v11
	v_ashrrev_i32_e32 v10, 31, v10
	v_xor_b32_e32 v11, s25, v10
	v_xor_b32_e32 v10, s24, v10
	v_and_b32_e32 v8, v8, v11
	v_and_b32_e32 v56, v56, v10
	v_lshlrev_b32_e32 v11, 28, v55
	v_mov_b32_e32 v10, v9
	v_cmp_gt_i64_e64 s[24:25], 0, v[10:11]
	v_not_b32_e32 v10, v11
	v_ashrrev_i32_e32 v10, 31, v10
	;; [unrolled: 9-line block ×6, first 2 shown]
	v_xor_b32_e32 v11, s25, v10
	v_xor_b32_e32 v10, s24, v10
	ds_read_b32 v54, v21 offset:64
	v_and_b32_e32 v10, v56, v10
	v_and_b32_e32 v11, v8, v11
	v_mbcnt_lo_u32_b32 v8, v10, 0
	v_mbcnt_hi_u32_b32 v56, v11, v8
	v_cmp_eq_u32_e64 s[24:25], 0, v56
	v_cmp_ne_u64_e64 s[26:27], 0, v[10:11]
	s_and_b64 s[26:27], s[26:27], s[24:25]
	; wave barrier
	s_and_saveexec_b64 s[24:25], s[26:27]
	s_cbranch_execz .LBB15_47
; %bb.46:
	v_bcnt_u32_b32 v8, v10, 0
	v_bcnt_u32_b32 v8, v11, v8
	s_waitcnt lgkmcnt(0)
	v_add_u32_e32 v8, v54, v8
	ds_write_b32 v21, v8 offset:64
.LBB15_47:
	s_or_b64 exec, exec, s[24:25]
	v_xor_b32_e32 v55, 0x7fffffff, v12
	v_lshrrev_b32_e32 v8, s68, v55
	v_and_b32_e32 v12, s33, v8
	v_lshl_add_u32 v8, v12, 4, v12
	v_add_lshl_u32 v57, v26, v8, 2
	v_and_b32_e32 v8, 1, v12
	v_lshl_add_u64 v[10:11], v[8:9], 0, -1
	v_cmp_ne_u32_e64 s[24:25], 0, v8
	; wave barrier
	s_nop 1
	v_xor_b32_e32 v10, s24, v10
	v_xor_b32_e32 v8, s25, v11
	v_and_b32_e32 v59, exec_lo, v10
	v_lshlrev_b32_e32 v11, 30, v12
	v_mov_b32_e32 v10, v9
	v_cmp_gt_i64_e64 s[24:25], 0, v[10:11]
	v_not_b32_e32 v10, v11
	v_ashrrev_i32_e32 v10, 31, v10
	v_and_b32_e32 v8, exec_hi, v8
	v_xor_b32_e32 v11, s25, v10
	v_xor_b32_e32 v10, s24, v10
	v_and_b32_e32 v8, v8, v11
	v_and_b32_e32 v59, v59, v10
	v_lshlrev_b32_e32 v11, 29, v12
	v_mov_b32_e32 v10, v9
	v_cmp_gt_i64_e64 s[24:25], 0, v[10:11]
	v_not_b32_e32 v10, v11
	v_ashrrev_i32_e32 v10, 31, v10
	v_xor_b32_e32 v11, s25, v10
	v_xor_b32_e32 v10, s24, v10
	v_and_b32_e32 v8, v8, v11
	v_and_b32_e32 v59, v59, v10
	v_lshlrev_b32_e32 v11, 28, v12
	v_mov_b32_e32 v10, v9
	v_cmp_gt_i64_e64 s[24:25], 0, v[10:11]
	v_not_b32_e32 v10, v11
	v_ashrrev_i32_e32 v10, 31, v10
	;; [unrolled: 9-line block ×5, first 2 shown]
	v_xor_b32_e32 v11, s25, v10
	v_xor_b32_e32 v10, s24, v10
	v_and_b32_e32 v8, v8, v11
	v_lshlrev_b32_e32 v11, 24, v12
	v_and_b32_e32 v59, v59, v10
	v_mov_b32_e32 v10, v9
	v_not_b32_e32 v9, v11
	v_cmp_gt_i64_e64 s[24:25], 0, v[10:11]
	v_ashrrev_i32_e32 v9, 31, v9
	ds_read_b32 v26, v57 offset:64
	v_xor_b32_e32 v10, s25, v9
	v_xor_b32_e32 v11, s24, v9
	v_and_b32_e32 v9, v8, v10
	v_and_b32_e32 v8, v59, v11
	v_mbcnt_lo_u32_b32 v10, v8, 0
	v_mbcnt_hi_u32_b32 v59, v9, v10
	v_cmp_eq_u32_e64 s[24:25], 0, v59
	v_cmp_ne_u64_e64 s[26:27], 0, v[8:9]
	v_add_u32_e32 v58, 64, v7
	s_and_b64 s[26:27], s[26:27], s[24:25]
	; wave barrier
	s_and_saveexec_b64 s[24:25], s[26:27]
	s_cbranch_execz .LBB15_49
; %bb.48:
	v_bcnt_u32_b32 v8, v8, 0
	v_bcnt_u32_b32 v8, v9, v8
	s_waitcnt lgkmcnt(0)
	v_add_u32_e32 v8, v26, v8
	ds_write_b32 v57, v8 offset:64
.LBB15_49:
	s_or_b64 exec, exec, s[24:25]
	; wave barrier
	s_waitcnt lgkmcnt(0)
	s_barrier
	ds_read2_b32 v[10:11], v7 offset0:16 offset1:17
	ds_read2_b32 v[8:9], v58 offset0:2 offset1:3
	ds_read_b32 v12, v58 offset:16
	v_cmp_lt_u32_e64 s[34:35], 31, v4
	s_waitcnt lgkmcnt(1)
	v_add3_u32 v60, v11, v10, v8
	s_waitcnt lgkmcnt(0)
	v_add3_u32 v12, v60, v9, v12
	v_and_b32_e32 v60, 15, v4
	v_cmp_eq_u32_e64 s[24:25], 0, v60
	v_mov_b32_dpp v61, v12 row_shr:1 row_mask:0xf bank_mask:0xf
	v_cmp_lt_u32_e64 s[26:27], 1, v60
	v_cndmask_b32_e64 v61, v61, 0, s[24:25]
	v_add_u32_e32 v12, v61, v12
	v_cmp_lt_u32_e64 s[28:29], 3, v60
	v_cmp_lt_u32_e64 s[30:31], 7, v60
	v_mov_b32_dpp v61, v12 row_shr:2 row_mask:0xf bank_mask:0xf
	v_cndmask_b32_e64 v61, 0, v61, s[26:27]
	v_add_u32_e32 v12, v12, v61
	s_nop 1
	v_mov_b32_dpp v61, v12 row_shr:4 row_mask:0xf bank_mask:0xf
	v_cndmask_b32_e64 v61, 0, v61, s[28:29]
	v_add_u32_e32 v12, v12, v61
	s_nop 1
	v_mov_b32_dpp v61, v12 row_shr:8 row_mask:0xf bank_mask:0xf
	v_cndmask_b32_e64 v60, 0, v61, s[30:31]
	v_add_u32_e32 v12, v12, v60
	v_bfe_i32 v61, v4, 4, 1
	s_nop 0
	v_mov_b32_dpp v60, v12 row_bcast:15 row_mask:0xf bank_mask:0xf
	v_and_b32_e32 v60, v61, v60
	v_add_u32_e32 v12, v12, v60
	v_lshrrev_b32_e32 v61, 6, v2
	s_nop 0
	v_mov_b32_dpp v60, v12 row_bcast:31 row_mask:0xf bank_mask:0xf
	v_cndmask_b32_e64 v60, 0, v60, s[34:35]
	v_add_u32_e32 v60, v12, v60
	v_and_b32_e32 v12, 63, v2
	v_cmp_eq_u32_e64 s[34:35], 63, v12
	s_and_saveexec_b64 s[36:37], s[34:35]
	s_cbranch_execz .LBB15_51
; %bb.50:
	v_lshlrev_b32_e32 v12, 2, v61
	ds_write_b32 v12, v60
.LBB15_51:
	s_or_b64 exec, exec, s[36:37]
	v_cmp_gt_u32_e64 s[34:35], 16, v2
	v_lshlrev_b32_e32 v12, 2, v2
	s_waitcnt lgkmcnt(0)
	s_barrier
	s_and_saveexec_b64 s[36:37], s[34:35]
	s_cbranch_execz .LBB15_53
; %bb.52:
	ds_read_b32 v62, v12
	s_waitcnt lgkmcnt(0)
	s_nop 0
	v_mov_b32_dpp v63, v62 row_shr:1 row_mask:0xf bank_mask:0xf
	v_cndmask_b32_e64 v63, v63, 0, s[24:25]
	v_add_u32_e32 v62, v63, v62
	s_nop 1
	v_mov_b32_dpp v63, v62 row_shr:2 row_mask:0xf bank_mask:0xf
	v_cndmask_b32_e64 v63, 0, v63, s[26:27]
	v_add_u32_e32 v62, v62, v63
	;; [unrolled: 4-line block ×4, first 2 shown]
	ds_write_b32 v12, v62
.LBB15_53:
	s_or_b64 exec, exec, s[36:37]
	v_cmp_lt_u32_e64 s[24:25], 63, v2
	v_mov_b32_e32 v62, 0
	s_waitcnt lgkmcnt(0)
	s_barrier
	s_and_saveexec_b64 s[26:27], s[24:25]
	s_cbranch_execz .LBB15_55
; %bb.54:
	v_lshl_add_u32 v61, v61, 2, -4
	ds_read_b32 v62, v61
.LBB15_55:
	s_or_b64 exec, exec, s[26:27]
	v_add_u32_e32 v61, -1, v4
	v_and_b32_e32 v63, 64, v4
	v_cmp_lt_i32_e64 s[24:25], v61, v63
	s_waitcnt lgkmcnt(0)
	v_add_u32_e32 v60, v62, v60
	v_cndmask_b32_e64 v61, v61, v4, s[24:25]
	v_lshlrev_b32_e32 v61, 2, v61
	ds_bpermute_b32 v60, v61, v60
	v_cmp_eq_u32_e64 s[24:25], 0, v4
	s_waitcnt lgkmcnt(0)
	s_nop 0
	v_cndmask_b32_e64 v60, v60, v62, s[24:25]
	v_cmp_ne_u32_e64 s[24:25], 0, v2
	s_nop 1
	v_cndmask_b32_e64 v60, 0, v60, s[24:25]
	v_add_u32_e32 v10, v60, v10
	v_add_u32_e32 v11, v10, v11
	;; [unrolled: 1-line block ×4, first 2 shown]
	ds_write2_b32 v7, v60, v10 offset0:16 offset1:17
	ds_write2_b32 v58, v11, v8 offset0:2 offset1:3
	ds_write_b32 v58, v9 offset:16
	s_waitcnt lgkmcnt(0)
	s_barrier
	ds_read_b32 v9, v16 offset:64
	ds_read_b32 v11, v17 offset:64
	;; [unrolled: 1-line block ×12, first 2 shown]
	s_movk_i32 s24, 0x100
	v_cmp_gt_u32_e64 s[24:25], s24, v2
                                        ; implicit-def: $vgpr8
                                        ; implicit-def: $vgpr10
	s_and_saveexec_b64 s[28:29], s[24:25]
	s_cbranch_execz .LBB15_59
; %bb.56:
	v_mul_u32_u24_e32 v7, 17, v2
	v_lshlrev_b32_e32 v10, 2, v7
	ds_read_b32 v8, v10 offset:64
	s_movk_i32 s26, 0xff
	v_cmp_ne_u32_e64 s[26:27], s26, v2
	v_mov_b32_e32 v7, 0x3000
	s_and_saveexec_b64 s[30:31], s[26:27]
	s_cbranch_execz .LBB15_58
; %bb.57:
	ds_read_b32 v7, v10 offset:132
.LBB15_58:
	s_or_b64 exec, exec, s[30:31]
	s_waitcnt lgkmcnt(0)
	v_sub_u32_e32 v10, v7, v8
.LBB15_59:
	s_or_b64 exec, exec, s[28:29]
	s_waitcnt lgkmcnt(11)
	v_add_u32_e32 v9, v9, v14
	s_waitcnt lgkmcnt(10)
	v_add3_u32 v11, v19, v15, v11
	v_lshlrev_b32_e32 v14, 2, v9
	s_waitcnt lgkmcnt(9)
	v_add3_u32 v21, v24, v20, v16
	s_waitcnt lgkmcnt(0)
	s_barrier
	ds_write_b32 v14, v3 offset:2048
	v_lshlrev_b32_e32 v3, 2, v11
	v_add3_u32 v25, v30, v25, v17
	ds_write_b32 v3, v13 offset:2048
	v_lshlrev_b32_e32 v3, 2, v21
	v_add3_u32 v27, v35, v31, v22
	ds_write_b32 v3, v18 offset:2048
	v_lshlrev_b32_e32 v3, 2, v25
	v_add3_u32 v30, v40, v37, v28
	ds_write_b32 v3, v23 offset:2048
	v_lshlrev_b32_e32 v3, 2, v27
	v_add3_u32 v31, v44, v41, v33
	ds_write_b32 v3, v29 offset:2048
	v_lshlrev_b32_e32 v3, 2, v30
	v_add3_u32 v32, v47, v36, v38
	ds_write_b32 v3, v34 offset:2048
	v_lshlrev_b32_e32 v3, 2, v31
	v_add3_u32 v33, v50, v48, v42
	ds_write_b32 v3, v39 offset:2048
	v_lshlrev_b32_e32 v3, 2, v32
	v_add3_u32 v35, v53, v51, v45
	ds_write_b32 v3, v43 offset:2048
	v_lshlrev_b32_e32 v3, 2, v33
	v_add3_u32 v36, v56, v54, v58
	ds_write_b32 v3, v46 offset:2048
	v_lshlrev_b32_e32 v3, 2, v35
	v_add3_u32 v37, v59, v26, v57
	ds_write_b32 v3, v49 offset:2048
	v_lshlrev_b32_e32 v3, 2, v36
	v_mov_b32_e32 v7, v5
	ds_write_b32 v3, v52 offset:2048
	v_lshlrev_b32_e32 v3, 2, v37
	ds_write_b32 v3, v55 offset:2048
	s_waitcnt lgkmcnt(0)
	s_barrier
	s_and_saveexec_b64 s[28:29], s[24:25]
	s_cbranch_execz .LBB15_69
; %bb.60:
	v_lshl_or_b32 v16, s2, 8, v2
	v_mov_b32_e32 v17, 0
	v_lshl_add_u64 v[14:15], v[16:17], 2, s[72:73]
	v_or_b32_e32 v3, 2.0, v10
	global_store_dword v[14:15], v3, off sc1
	s_mov_b64 s[30:31], 0
	s_brev_b32 s38, 1
	s_mov_b32 s39, s2
	v_mov_b32_e32 v3, 0
                                        ; implicit-def: $sgpr26_sgpr27
	s_branch .LBB15_62
.LBB15_61:                              ;   in Loop: Header=BB15_62 Depth=1
	s_or_b64 exec, exec, s[34:35]
	v_and_b32_e32 v16, 0x3fffffff, v16
	v_add_u32_e32 v3, v16, v3
	v_cmp_eq_u32_e64 s[26:27], s38, v13
	s_and_b64 s[34:35], exec, s[26:27]
	s_or_b64 s[30:31], s[34:35], s[30:31]
	s_andn2_b64 exec, exec, s[30:31]
	s_cbranch_execz .LBB15_68
.LBB15_62:                              ; =>This Loop Header: Depth=1
                                        ;     Child Loop BB15_65 Depth 2
	s_or_b64 s[26:27], s[26:27], exec
	s_cmp_eq_u32 s39, 0
	s_cbranch_scc1 .LBB15_67
; %bb.63:                               ;   in Loop: Header=BB15_62 Depth=1
	s_add_i32 s39, s39, -1
	v_lshl_or_b32 v16, s39, 8, v2
	v_lshl_add_u64 v[18:19], v[16:17], 2, s[72:73]
	global_load_dword v16, v[18:19], off sc1
	s_waitcnt vmcnt(0)
	v_and_b32_e32 v13, -2.0, v16
	v_cmp_eq_u32_e64 s[26:27], 0, v13
	s_and_saveexec_b64 s[34:35], s[26:27]
	s_cbranch_execz .LBB15_61
; %bb.64:                               ;   in Loop: Header=BB15_62 Depth=1
	s_mov_b64 s[36:37], 0
.LBB15_65:                              ;   Parent Loop BB15_62 Depth=1
                                        ; =>  This Inner Loop Header: Depth=2
	global_load_dword v16, v[18:19], off sc1
	s_waitcnt vmcnt(0)
	v_and_b32_e32 v13, -2.0, v16
	v_cmp_ne_u32_e64 s[26:27], 0, v13
	s_or_b64 s[36:37], s[26:27], s[36:37]
	s_andn2_b64 exec, exec, s[36:37]
	s_cbranch_execnz .LBB15_65
; %bb.66:                               ;   in Loop: Header=BB15_62 Depth=1
	s_or_b64 exec, exec, s[36:37]
	s_branch .LBB15_61
.LBB15_67:                              ;   in Loop: Header=BB15_62 Depth=1
                                        ; implicit-def: $sgpr39
	s_and_b64 s[34:35], exec, s[26:27]
	s_or_b64 s[30:31], s[34:35], s[30:31]
	s_andn2_b64 exec, exec, s[30:31]
	s_cbranch_execnz .LBB15_62
.LBB15_68:
	s_or_b64 exec, exec, s[30:31]
	v_add_u32_e32 v13, v3, v10
	v_or_b32_e32 v13, 0x80000000, v13
	global_store_dword v[14:15], v13, off sc1
	v_lshlrev_b32_e32 v13, 3, v2
	global_load_dwordx2 v[14:15], v13, s[64:65]
	v_sub_co_u32_e64 v16, s[26:27], v3, v8
	s_nop 1
	v_subb_co_u32_e64 v17, s[26:27], 0, 0, s[26:27]
	s_waitcnt vmcnt(0)
	v_lshl_add_u64 v[14:15], v[16:17], 0, v[14:15]
	ds_write_b64 v13, v[14:15]
.LBB15_69:
	s_or_b64 exec, exec, s[28:29]
	v_cmp_gt_u32_e64 s[26:27], s55, v2
	s_waitcnt lgkmcnt(0)
	s_barrier
	s_and_saveexec_b64 s[28:29], s[26:27]
	s_cbranch_execz .LBB15_71
; %bb.70:
	ds_read_b32 v3, v12 offset:2048
	s_waitcnt lgkmcnt(0)
	v_lshrrev_b32_e32 v13, s68, v3
	v_and_b32_e32 v13, s33, v13
	v_lshlrev_b32_e32 v13, 3, v13
	ds_read_b64 v[14:15], v13
	v_mov_b32_e32 v13, 0
	v_xor_b32_e32 v3, 0x7fffffff, v3
	s_waitcnt lgkmcnt(0)
	v_lshl_add_u64 v[14:15], v[14:15], 2, s[58:59]
	v_lshl_add_u64 v[14:15], v[14:15], 0, v[12:13]
	global_store_dword v[14:15], v3, off
.LBB15_71:
	s_or_b64 exec, exec, s[28:29]
	v_or_b32_e32 v3, 0x400, v2
	v_cmp_gt_u32_e64 s[28:29], s55, v3
	s_and_saveexec_b64 s[30:31], s[28:29]
	s_cbranch_execz .LBB15_73
; %bb.72:
	ds_read_b32 v13, v12 offset:6144
	v_lshlrev_b32_e32 v16, 2, v3
	v_mov_b32_e32 v17, 0
	s_waitcnt lgkmcnt(0)
	v_lshrrev_b32_e32 v14, s68, v13
	v_and_b32_e32 v14, s33, v14
	v_lshlrev_b32_e32 v14, 3, v14
	ds_read_b64 v[14:15], v14
	v_xor_b32_e32 v3, 0x7fffffff, v13
	s_waitcnt lgkmcnt(0)
	v_lshl_add_u64 v[14:15], v[14:15], 2, s[58:59]
	v_lshl_add_u64 v[14:15], v[14:15], 0, v[16:17]
	global_store_dword v[14:15], v3, off
.LBB15_73:
	s_or_b64 exec, exec, s[30:31]
	v_or_b32_e32 v3, 0x800, v2
	v_cmp_gt_u32_e64 s[30:31], s55, v3
	s_and_saveexec_b64 s[34:35], s[30:31]
	s_cbranch_execz .LBB15_75
; %bb.74:
	ds_read_b32 v13, v12 offset:10240
	v_lshlrev_b32_e32 v16, 2, v3
	v_mov_b32_e32 v17, 0
	s_waitcnt lgkmcnt(0)
	v_lshrrev_b32_e32 v14, s68, v13
	v_and_b32_e32 v14, s33, v14
	v_lshlrev_b32_e32 v14, 3, v14
	ds_read_b64 v[14:15], v14
	v_xor_b32_e32 v3, 0x7fffffff, v13
	s_waitcnt lgkmcnt(0)
	v_lshl_add_u64 v[14:15], v[14:15], 2, s[58:59]
	v_lshl_add_u64 v[14:15], v[14:15], 0, v[16:17]
	global_store_dword v[14:15], v3, off
.LBB15_75:
	s_or_b64 exec, exec, s[34:35]
	v_or_b32_e32 v3, 0xc00, v2
	v_cmp_gt_u32_e64 s[34:35], s55, v3
	s_and_saveexec_b64 s[36:37], s[34:35]
	s_cbranch_execz .LBB15_77
; %bb.76:
	ds_read_b32 v13, v12 offset:14336
	v_lshlrev_b32_e32 v16, 2, v3
	v_mov_b32_e32 v17, 0
	s_waitcnt lgkmcnt(0)
	v_lshrrev_b32_e32 v14, s68, v13
	v_and_b32_e32 v14, s33, v14
	v_lshlrev_b32_e32 v14, 3, v14
	ds_read_b64 v[14:15], v14
	v_xor_b32_e32 v3, 0x7fffffff, v13
	s_waitcnt lgkmcnt(0)
	v_lshl_add_u64 v[14:15], v[14:15], 2, s[58:59]
	v_lshl_add_u64 v[14:15], v[14:15], 0, v[16:17]
	global_store_dword v[14:15], v3, off
.LBB15_77:
	s_or_b64 exec, exec, s[36:37]
	v_or_b32_e32 v14, 0x1000, v2
	v_cmp_gt_u32_e64 s[36:37], s55, v14
	s_and_saveexec_b64 s[38:39], s[36:37]
	s_cbranch_execz .LBB15_79
; %bb.78:
	ds_read_b32 v3, v12 offset:18432
	v_lshlrev_b32_e32 v18, 2, v14
	v_mov_b32_e32 v19, 0
	s_waitcnt lgkmcnt(0)
	v_lshrrev_b32_e32 v13, s68, v3
	v_and_b32_e32 v13, s33, v13
	v_lshlrev_b32_e32 v13, 3, v13
	ds_read_b64 v[16:17], v13
	v_xor_b32_e32 v3, 0x7fffffff, v3
	s_waitcnt lgkmcnt(0)
	v_lshl_add_u64 v[16:17], v[16:17], 2, s[58:59]
	v_lshl_add_u64 v[16:17], v[16:17], 0, v[18:19]
	global_store_dword v[16:17], v3, off
.LBB15_79:
	s_or_b64 exec, exec, s[38:39]
	v_or_b32_e32 v16, 0x1400, v2
	v_cmp_gt_u32_e64 s[38:39], s55, v16
	s_and_saveexec_b64 s[40:41], s[38:39]
	s_cbranch_execz .LBB15_81
; %bb.80:
	ds_read_b32 v3, v12 offset:22528
	v_lshlrev_b32_e32 v22, 2, v16
	v_mov_b32_e32 v23, 0
	s_waitcnt lgkmcnt(0)
	v_lshrrev_b32_e32 v13, s68, v3
	v_and_b32_e32 v13, s33, v13
	v_lshlrev_b32_e32 v13, 3, v13
	ds_read_b64 v[18:19], v13
	v_xor_b32_e32 v3, 0x7fffffff, v3
	s_waitcnt lgkmcnt(0)
	v_lshl_add_u64 v[18:19], v[18:19], 2, s[58:59]
	v_lshl_add_u64 v[18:19], v[18:19], 0, v[22:23]
	global_store_dword v[18:19], v3, off
.LBB15_81:
	s_or_b64 exec, exec, s[40:41]
	v_or_b32_e32 v18, 0x1800, v2
	v_cmp_gt_u32_e64 s[40:41], s55, v18
	s_and_saveexec_b64 s[42:43], s[40:41]
	s_cbranch_execz .LBB15_83
; %bb.82:
	ds_read_b32 v3, v12 offset:26624
	v_lshlrev_b32_e32 v28, 2, v18
	v_mov_b32_e32 v29, 0
	s_waitcnt lgkmcnt(0)
	v_lshrrev_b32_e32 v13, s68, v3
	v_and_b32_e32 v13, s33, v13
	v_lshlrev_b32_e32 v13, 3, v13
	ds_read_b64 v[22:23], v13
	v_xor_b32_e32 v3, 0x7fffffff, v3
	s_waitcnt lgkmcnt(0)
	v_lshl_add_u64 v[22:23], v[22:23], 2, s[58:59]
	v_lshl_add_u64 v[22:23], v[22:23], 0, v[28:29]
	global_store_dword v[22:23], v3, off
.LBB15_83:
	s_or_b64 exec, exec, s[42:43]
	v_or_b32_e32 v20, 0x1c00, v2
	v_cmp_gt_u32_e64 s[42:43], s55, v20
	s_and_saveexec_b64 s[44:45], s[42:43]
	s_cbranch_execz .LBB15_85
; %bb.84:
	ds_read_b32 v3, v12 offset:30720
	v_lshlrev_b32_e32 v28, 2, v20
	v_mov_b32_e32 v29, 0
	s_waitcnt lgkmcnt(0)
	v_lshrrev_b32_e32 v13, s68, v3
	v_and_b32_e32 v13, s33, v13
	v_lshlrev_b32_e32 v13, 3, v13
	ds_read_b64 v[22:23], v13
	v_xor_b32_e32 v3, 0x7fffffff, v3
	s_waitcnt lgkmcnt(0)
	v_lshl_add_u64 v[22:23], v[22:23], 2, s[58:59]
	v_lshl_add_u64 v[22:23], v[22:23], 0, v[28:29]
	global_store_dword v[22:23], v3, off
.LBB15_85:
	s_or_b64 exec, exec, s[44:45]
	v_or_b32_e32 v22, 0x2000, v2
	v_cmp_gt_u32_e64 s[44:45], s55, v22
	s_and_saveexec_b64 s[46:47], s[44:45]
	s_cbranch_execz .LBB15_87
; %bb.86:
	ds_read_b32 v3, v12 offset:34816
	v_lshlrev_b32_e32 v38, 2, v22
	v_mov_b32_e32 v39, 0
	s_waitcnt lgkmcnt(0)
	v_lshrrev_b32_e32 v13, s68, v3
	v_and_b32_e32 v13, s33, v13
	v_lshlrev_b32_e32 v13, 3, v13
	ds_read_b64 v[28:29], v13
	v_xor_b32_e32 v3, 0x7fffffff, v3
	s_waitcnt lgkmcnt(0)
	v_lshl_add_u64 v[28:29], v[28:29], 2, s[58:59]
	v_lshl_add_u64 v[28:29], v[28:29], 0, v[38:39]
	global_store_dword v[28:29], v3, off
.LBB15_87:
	s_or_b64 exec, exec, s[46:47]
	v_or_b32_e32 v24, 0x2400, v2
	v_cmp_gt_u32_e64 s[46:47], s55, v24
	s_and_saveexec_b64 s[48:49], s[46:47]
	s_cbranch_execz .LBB15_89
; %bb.88:
	ds_read_b32 v3, v12 offset:38912
	v_lshlrev_b32_e32 v38, 2, v24
	v_mov_b32_e32 v39, 0
	s_waitcnt lgkmcnt(0)
	v_lshrrev_b32_e32 v13, s68, v3
	v_and_b32_e32 v13, s33, v13
	v_lshlrev_b32_e32 v13, 3, v13
	ds_read_b64 v[28:29], v13
	v_xor_b32_e32 v3, 0x7fffffff, v3
	s_waitcnt lgkmcnt(0)
	v_lshl_add_u64 v[28:29], v[28:29], 2, s[58:59]
	v_lshl_add_u64 v[28:29], v[28:29], 0, v[38:39]
	global_store_dword v[28:29], v3, off
.LBB15_89:
	s_or_b64 exec, exec, s[48:49]
	v_or_b32_e32 v26, 0x2800, v2
	v_cmp_gt_u32_e64 s[48:49], s55, v26
	s_and_saveexec_b64 s[50:51], s[48:49]
	s_cbranch_execz .LBB15_91
; %bb.90:
	ds_read_b32 v3, v12 offset:43008
	v_lshlrev_b32_e32 v38, 2, v26
	v_mov_b32_e32 v39, 0
	s_waitcnt lgkmcnt(0)
	v_lshrrev_b32_e32 v13, s68, v3
	v_and_b32_e32 v13, s33, v13
	v_lshlrev_b32_e32 v13, 3, v13
	ds_read_b64 v[28:29], v13
	v_xor_b32_e32 v3, 0x7fffffff, v3
	s_waitcnt lgkmcnt(0)
	v_lshl_add_u64 v[28:29], v[28:29], 2, s[58:59]
	v_lshl_add_u64 v[28:29], v[28:29], 0, v[38:39]
	global_store_dword v[28:29], v3, off
.LBB15_91:
	s_or_b64 exec, exec, s[50:51]
	v_or_b32_e32 v28, 0x2c00, v2
	v_cmp_gt_u32_e64 s[50:51], s55, v28
	s_and_saveexec_b64 s[70:71], s[50:51]
	s_cbranch_execz .LBB15_93
; %bb.92:
	ds_read_b32 v3, v12 offset:47104
	v_lshlrev_b32_e32 v40, 2, v28
	v_mov_b32_e32 v41, 0
	s_waitcnt lgkmcnt(0)
	v_lshrrev_b32_e32 v13, s68, v3
	v_and_b32_e32 v13, s33, v13
	v_lshlrev_b32_e32 v13, 3, v13
	ds_read_b64 v[38:39], v13
	v_xor_b32_e32 v3, 0x7fffffff, v3
	s_waitcnt lgkmcnt(0)
	v_lshl_add_u64 v[38:39], v[38:39], 2, s[58:59]
	v_lshl_add_u64 v[38:39], v[38:39], 0, v[40:41]
	global_store_dword v[38:39], v3, off
.LBB15_93:
	s_or_b64 exec, exec, s[70:71]
	s_add_u32 s70, s60, s54
	s_addc_u32 s71, s61, 0
	v_lshl_add_u64 v[4:5], s[70:71], 0, v[4:5]
	v_lshl_add_u64 v[4:5], v[4:5], 0, v[6:7]
                                        ; implicit-def: $vgpr3
	s_and_saveexec_b64 s[70:71], vcc
	s_xor_b64 s[70:71], exec, s[70:71]
	s_cbranch_execnz .LBB15_188
; %bb.94:
	s_or_b64 exec, exec, s[70:71]
                                        ; implicit-def: $vgpr6
	s_and_saveexec_b64 s[70:71], s[52:53]
	s_cbranch_execnz .LBB15_189
.LBB15_95:
	s_or_b64 exec, exec, s[70:71]
                                        ; implicit-def: $vgpr7
	s_and_saveexec_b64 s[52:53], s[4:5]
	s_cbranch_execnz .LBB15_190
.LBB15_96:
	s_or_b64 exec, exec, s[52:53]
                                        ; implicit-def: $vgpr13
	s_and_saveexec_b64 s[4:5], s[6:7]
	s_cbranch_execnz .LBB15_191
.LBB15_97:
	s_or_b64 exec, exec, s[4:5]
                                        ; implicit-def: $vgpr15
	s_and_saveexec_b64 s[4:5], s[8:9]
	s_cbranch_execnz .LBB15_192
.LBB15_98:
	s_or_b64 exec, exec, s[4:5]
                                        ; implicit-def: $vgpr17
	s_and_saveexec_b64 s[4:5], s[10:11]
	s_cbranch_execnz .LBB15_193
.LBB15_99:
	s_or_b64 exec, exec, s[4:5]
                                        ; implicit-def: $vgpr19
	s_and_saveexec_b64 s[4:5], s[12:13]
	s_cbranch_execnz .LBB15_194
.LBB15_100:
	s_or_b64 exec, exec, s[4:5]
                                        ; implicit-def: $vgpr23
	s_and_saveexec_b64 s[4:5], s[14:15]
	s_cbranch_execnz .LBB15_195
.LBB15_101:
	s_or_b64 exec, exec, s[4:5]
                                        ; implicit-def: $vgpr38
	s_and_saveexec_b64 s[4:5], s[16:17]
	s_cbranch_execnz .LBB15_196
.LBB15_102:
	s_or_b64 exec, exec, s[4:5]
                                        ; implicit-def: $vgpr41
	s_and_saveexec_b64 s[4:5], s[18:19]
	s_cbranch_execnz .LBB15_197
.LBB15_103:
	s_or_b64 exec, exec, s[4:5]
                                        ; implicit-def: $vgpr44
	s_and_saveexec_b64 s[4:5], s[20:21]
	s_cbranch_execnz .LBB15_198
.LBB15_104:
	s_or_b64 exec, exec, s[4:5]
                                        ; implicit-def: $vgpr48
	s_and_saveexec_b64 s[4:5], s[22:23]
	s_cbranch_execnz .LBB15_199
.LBB15_105:
	s_or_b64 exec, exec, s[4:5]
                                        ; implicit-def: $vgpr49
	s_and_saveexec_b64 s[4:5], s[26:27]
	s_cbranch_execnz .LBB15_200
.LBB15_106:
	s_or_b64 exec, exec, s[4:5]
                                        ; implicit-def: $vgpr47
	s_and_saveexec_b64 s[4:5], s[28:29]
	s_cbranch_execnz .LBB15_201
.LBB15_107:
	s_or_b64 exec, exec, s[4:5]
                                        ; implicit-def: $vgpr46
	s_and_saveexec_b64 s[4:5], s[30:31]
	s_cbranch_execnz .LBB15_202
.LBB15_108:
	s_or_b64 exec, exec, s[4:5]
                                        ; implicit-def: $vgpr45
	s_and_saveexec_b64 s[4:5], s[34:35]
	s_cbranch_execnz .LBB15_203
.LBB15_109:
	s_or_b64 exec, exec, s[4:5]
                                        ; implicit-def: $vgpr43
	s_and_saveexec_b64 s[4:5], s[36:37]
	s_cbranch_execnz .LBB15_204
.LBB15_110:
	s_or_b64 exec, exec, s[4:5]
                                        ; implicit-def: $vgpr42
	s_and_saveexec_b64 s[4:5], s[38:39]
	s_cbranch_execnz .LBB15_205
.LBB15_111:
	s_or_b64 exec, exec, s[4:5]
                                        ; implicit-def: $vgpr40
	s_and_saveexec_b64 s[4:5], s[40:41]
	s_cbranch_execnz .LBB15_206
.LBB15_112:
	s_or_b64 exec, exec, s[4:5]
                                        ; implicit-def: $vgpr39
	s_and_saveexec_b64 s[4:5], s[42:43]
	s_cbranch_execnz .LBB15_207
.LBB15_113:
	s_or_b64 exec, exec, s[4:5]
                                        ; implicit-def: $vgpr34
	s_and_saveexec_b64 s[4:5], s[44:45]
	s_cbranch_execz .LBB15_115
.LBB15_114:
	ds_read_b32 v4, v12 offset:34816
	s_waitcnt lgkmcnt(0)
	v_lshrrev_b32_e32 v4, s68, v4
	v_and_b32_e32 v34, s33, v4
.LBB15_115:
	s_or_b64 exec, exec, s[4:5]
	v_mov_b32_e32 v4, 0
	v_mov_b32_e32 v29, 0
	s_and_saveexec_b64 s[4:5], s[46:47]
	s_cbranch_execnz .LBB15_208
; %bb.116:
	s_or_b64 exec, exec, s[4:5]
	s_and_saveexec_b64 s[4:5], s[48:49]
	s_cbranch_execnz .LBB15_209
.LBB15_117:
	s_or_b64 exec, exec, s[4:5]
	v_mov_b32_e32 v5, 0
	s_and_saveexec_b64 s[4:5], s[50:51]
	s_cbranch_execz .LBB15_119
.LBB15_118:
	ds_read_b32 v5, v12 offset:47104
	s_waitcnt lgkmcnt(0)
	v_lshrrev_b32_e32 v5, s68, v5
	v_and_b32_e32 v5, s33, v5
.LBB15_119:
	s_or_b64 exec, exec, s[4:5]
	s_barrier
	s_waitcnt vmcnt(0)
	ds_write_b8 v9, v3 offset:2048
	ds_write_b8 v11, v6 offset:2048
	;; [unrolled: 1-line block ×12, first 2 shown]
	s_waitcnt lgkmcnt(0)
	s_barrier
	s_and_saveexec_b64 s[4:5], s[26:27]
	s_cbranch_execnz .LBB15_210
; %bb.120:
	s_or_b64 exec, exec, s[4:5]
	s_and_saveexec_b64 s[4:5], s[28:29]
	s_cbranch_execnz .LBB15_211
.LBB15_121:
	s_or_b64 exec, exec, s[4:5]
	s_and_saveexec_b64 s[4:5], s[30:31]
	s_cbranch_execnz .LBB15_212
.LBB15_122:
	s_or_b64 exec, exec, s[4:5]
	s_and_saveexec_b64 s[4:5], s[34:35]
	s_cbranch_execnz .LBB15_213
.LBB15_123:
	s_or_b64 exec, exec, s[4:5]
	s_and_saveexec_b64 s[4:5], s[36:37]
	s_cbranch_execnz .LBB15_214
.LBB15_124:
	s_or_b64 exec, exec, s[4:5]
	s_and_saveexec_b64 s[4:5], s[38:39]
	s_cbranch_execnz .LBB15_215
.LBB15_125:
	s_or_b64 exec, exec, s[4:5]
	s_and_saveexec_b64 s[4:5], s[40:41]
	s_cbranch_execnz .LBB15_216
.LBB15_126:
	s_or_b64 exec, exec, s[4:5]
	s_and_saveexec_b64 s[4:5], s[42:43]
	s_cbranch_execnz .LBB15_217
.LBB15_127:
	s_or_b64 exec, exec, s[4:5]
	s_and_saveexec_b64 s[4:5], s[44:45]
	s_cbranch_execnz .LBB15_218
.LBB15_128:
	s_or_b64 exec, exec, s[4:5]
	s_and_saveexec_b64 s[4:5], s[46:47]
	s_cbranch_execnz .LBB15_219
.LBB15_129:
	s_or_b64 exec, exec, s[4:5]
	s_and_saveexec_b64 s[4:5], s[48:49]
	s_cbranch_execnz .LBB15_220
.LBB15_130:
	s_or_b64 exec, exec, s[4:5]
	s_and_saveexec_b64 s[4:5], s[50:51]
	s_cbranch_execz .LBB15_132
.LBB15_131:
	v_lshlrev_b32_e32 v3, 3, v5
	ds_read_b64 v[4:5], v3
	ds_read_u8 v3, v2 offset:13312
	v_mov_b32_e32 v29, 0
	s_waitcnt lgkmcnt(1)
	v_lshl_add_u64 v[4:5], s[62:63], 0, v[4:5]
	v_lshl_add_u64 v[4:5], v[4:5], 0, v[28:29]
	s_waitcnt lgkmcnt(0)
	global_store_byte v[4:5], v3, off
.LBB15_132:
	s_or_b64 exec, exec, s[4:5]
	s_add_i32 s3, s3, -1
	s_cmp_eq_u32 s2, s3
	s_cselect_b64 s[4:5], -1, 0
	s_and_b64 s[6:7], s[24:25], s[4:5]
	s_mov_b64 s[4:5], 0
	s_mov_b64 s[10:11], 0
                                        ; implicit-def: $vgpr4_vgpr5
	s_and_saveexec_b64 s[8:9], s[6:7]
	s_xor_b64 s[6:7], exec, s[8:9]
; %bb.133:
	v_mov_b32_e32 v9, 0
	v_mov_b32_e32 v11, v9
	s_mov_b64 s[10:11], exec
	v_lshl_add_u64 v[4:5], v[8:9], 0, v[10:11]
	v_mov_b32_e32 v3, v9
; %bb.134:
	s_or_b64 exec, exec, s[6:7]
	s_and_b64 vcc, exec, s[4:5]
	s_cbranch_vccnz .LBB15_136
	s_branch .LBB15_185
.LBB15_135:
	s_mov_b64 s[10:11], 0
                                        ; implicit-def: $vgpr4_vgpr5
                                        ; implicit-def: $vgpr2_vgpr3
	s_cbranch_execz .LBB15_185
.LBB15_136:
	s_mov_b32 s55, 0
	s_lshl_b64 s[4:5], s[54:55], 2
	s_add_u32 s4, s56, s4
	v_mov_b32_e32 v5, 0
	v_mbcnt_hi_u32_b32 v4, -1, v1
	s_addc_u32 s5, s57, s5
	v_lshlrev_b32_e32 v8, 2, v4
	v_mov_b32_e32 v9, v5
	v_lshl_add_u64 v[8:9], s[4:5], 0, v[8:9]
	s_load_dword s4, s[0:1], 0x5c
	s_load_dword s3, s[0:1], 0x50
	v_and_b32_e32 v2, 0x3ff, v0
	v_and_b32_e32 v1, 0x3c0, v2
	v_mul_u32_u24_e32 v6, 12, v1
	v_lshlrev_b32_e32 v10, 2, v6
	v_mov_b32_e32 v11, v5
	s_add_u32 s0, s0, 0x50
	v_lshl_add_u64 v[10:11], v[8:9], 0, v[10:11]
	s_addc_u32 s1, s1, 0
	s_waitcnt lgkmcnt(0)
	s_lshr_b32 s4, s4, 16
	global_load_dword v3, v[10:11], off
	s_cmp_lt_u32 s2, s3
	s_cselect_b32 s5, 12, 18
	s_add_u32 s0, s0, s5
	s_addc_u32 s1, s1, 0
	global_load_ushort v18, v5, s[0:1]
	v_mul_u32_u24_e32 v7, 5, v2
	v_lshlrev_b32_e32 v7, 2, v7
	ds_write2_b32 v7, v5, v5 offset0:16 offset1:17
	ds_write2_b32 v7, v5, v5 offset0:18 offset1:19
	ds_write_b32 v7, v5 offset:80
	global_load_dword v9, v[10:11], off offset:256
	global_load_dword v8, v[10:11], off offset:512
	;; [unrolled: 1-line block ×11, first 2 shown]
	v_bfe_u32 v13, v0, 10, 10
	v_bfe_u32 v0, v0, 20, 10
	s_lshl_b32 s0, -1, s69
	v_mad_u32_u24 v10, v0, s4, v13
	s_not_b32 s14, s0
	v_mov_b32_e32 v1, v5
	v_mov_b32_e32 v12, v5
	;; [unrolled: 1-line block ×5, first 2 shown]
	s_waitcnt lgkmcnt(0)
	s_barrier
	s_waitcnt lgkmcnt(0)
	; wave barrier
	s_waitcnt vmcnt(12)
	v_xor_b32_e32 v3, 0x7fffffff, v3
	v_lshrrev_b32_e32 v0, s68, v3
	v_and_b32_e32 v24, s14, v0
	v_and_b32_e32 v0, 1, v24
	v_lshlrev_b32_e32 v13, 30, v24
	v_lshlrev_b32_e32 v15, 29, v24
	s_waitcnt vmcnt(11)
	v_mad_u64_u32 v[10:11], s[0:1], v10, v18, v[2:3]
	v_lshl_add_u64 v[28:29], v[0:1], 0, -1
	v_cmp_ne_u32_e32 vcc, 0, v0
	v_not_b32_e32 v0, v13
	v_lshlrev_b32_e32 v17, 28, v24
	v_cmp_gt_i64_e64 s[0:1], 0, v[12:13]
	v_not_b32_e32 v1, v15
	v_lshrrev_b32_e32 v20, 6, v10
	v_xor_b32_e32 v10, vcc_hi, v29
	v_ashrrev_i32_e32 v0, 31, v0
	v_cmp_gt_i64_e64 s[4:5], 0, v[14:15]
	v_not_b32_e32 v11, v17
	v_xor_b32_e32 v13, vcc_lo, v28
	v_ashrrev_i32_e32 v1, 31, v1
	v_and_b32_e32 v10, exec_hi, v10
	v_xor_b32_e32 v14, s1, v0
	v_cmp_gt_i64_e64 s[6:7], 0, v[16:17]
	v_ashrrev_i32_e32 v11, 31, v11
	v_and_b32_e32 v13, exec_lo, v13
	v_xor_b32_e32 v0, s0, v0
	v_xor_b32_e32 v15, s5, v1
	v_and_b32_e32 v10, v10, v14
	v_lshlrev_b32_e32 v23, 27, v24
	v_xor_b32_e32 v1, s4, v1
	v_xor_b32_e32 v16, s7, v11
	v_and_b32_e32 v0, v13, v0
	v_and_b32_e32 v10, v10, v15
	v_and_b32_e32 v0, v0, v1
	v_and_b32_e32 v1, v10, v16
	v_not_b32_e32 v10, v23
	v_cmp_gt_i64_e64 s[8:9], 0, v[22:23]
	v_xor_b32_e32 v11, s6, v11
	v_ashrrev_i32_e32 v10, 31, v10
	v_and_b32_e32 v0, v0, v11
	v_xor_b32_e32 v11, s9, v10
	v_xor_b32_e32 v10, s8, v10
	v_and_b32_e32 v11, v1, v11
	v_and_b32_e32 v10, v0, v10
	v_lshlrev_b32_e32 v1, 26, v24
	v_mov_b32_e32 v0, v5
	v_cmp_gt_i64_e32 vcc, 0, v[0:1]
	v_not_b32_e32 v0, v1
	v_ashrrev_i32_e32 v0, 31, v0
	v_xor_b32_e32 v1, vcc_hi, v0
	v_xor_b32_e32 v0, vcc_lo, v0
	v_and_b32_e32 v11, v11, v1
	v_and_b32_e32 v10, v10, v0
	v_lshlrev_b32_e32 v1, 25, v24
	v_mov_b32_e32 v0, v5
	v_cmp_gt_i64_e32 vcc, 0, v[0:1]
	v_not_b32_e32 v0, v1
	v_ashrrev_i32_e32 v0, 31, v0
	v_xor_b32_e32 v1, vcc_hi, v0
	v_xor_b32_e32 v0, vcc_lo, v0
	;; [unrolled: 9-line block ×3, first 2 shown]
	v_and_b32_e32 v0, v10, v0
	v_and_b32_e32 v1, v11, v1
	v_mbcnt_lo_u32_b32 v10, v0, 0
	v_mbcnt_hi_u32_b32 v11, v1, v10
	v_lshl_add_u32 v27, v24, 4, v24
	v_cmp_eq_u32_e32 vcc, 0, v11
	v_cmp_ne_u64_e64 s[0:1], 0, v[0:1]
	v_add_lshl_u32 v12, v20, v27, 2
	s_and_b64 s[4:5], s[0:1], vcc
	s_and_saveexec_b64 s[0:1], s[4:5]
	s_cbranch_execz .LBB15_138
; %bb.137:
	v_bcnt_u32_b32 v0, v0, 0
	v_bcnt_u32_b32 v0, v1, v0
	ds_write_b32 v12, v0 offset:64
.LBB15_138:
	s_or_b64 exec, exec, s[0:1]
	s_waitcnt vmcnt(10)
	v_xor_b32_e32 v10, 0x7fffffff, v9
	v_lshrrev_b32_e32 v0, s68, v10
	v_and_b32_e32 v9, s14, v0
	v_lshl_add_u32 v0, v9, 4, v9
	v_add_lshl_u32 v14, v20, v0, 2
	v_and_b32_e32 v0, 1, v9
	v_mov_b32_e32 v1, v5
	v_lshl_add_u64 v[16:17], v[0:1], 0, -1
	v_cmp_ne_u32_e32 vcc, 0, v0
	; wave barrier
	s_nop 1
	v_xor_b32_e32 v0, vcc_hi, v17
	v_xor_b32_e32 v1, vcc_lo, v16
	v_and_b32_e32 v15, exec_hi, v0
	v_and_b32_e32 v16, exec_lo, v1
	v_lshlrev_b32_e32 v1, 30, v9
	v_mov_b32_e32 v0, v5
	v_cmp_gt_i64_e32 vcc, 0, v[0:1]
	v_not_b32_e32 v0, v1
	v_ashrrev_i32_e32 v0, 31, v0
	v_xor_b32_e32 v1, vcc_hi, v0
	v_xor_b32_e32 v0, vcc_lo, v0
	v_and_b32_e32 v15, v15, v1
	v_and_b32_e32 v16, v16, v0
	v_lshlrev_b32_e32 v1, 29, v9
	v_mov_b32_e32 v0, v5
	v_cmp_gt_i64_e32 vcc, 0, v[0:1]
	v_not_b32_e32 v0, v1
	v_ashrrev_i32_e32 v0, 31, v0
	v_xor_b32_e32 v1, vcc_hi, v0
	v_xor_b32_e32 v0, vcc_lo, v0
	v_and_b32_e32 v15, v15, v1
	v_and_b32_e32 v16, v16, v0
	v_lshlrev_b32_e32 v1, 28, v9
	v_mov_b32_e32 v0, v5
	v_cmp_gt_i64_e32 vcc, 0, v[0:1]
	v_not_b32_e32 v0, v1
	v_ashrrev_i32_e32 v0, 31, v0
	v_xor_b32_e32 v1, vcc_hi, v0
	v_xor_b32_e32 v0, vcc_lo, v0
	v_and_b32_e32 v15, v15, v1
	v_and_b32_e32 v16, v16, v0
	v_lshlrev_b32_e32 v1, 27, v9
	v_mov_b32_e32 v0, v5
	v_cmp_gt_i64_e32 vcc, 0, v[0:1]
	v_not_b32_e32 v0, v1
	v_ashrrev_i32_e32 v0, 31, v0
	v_xor_b32_e32 v1, vcc_hi, v0
	v_xor_b32_e32 v0, vcc_lo, v0
	v_and_b32_e32 v15, v15, v1
	v_and_b32_e32 v16, v16, v0
	v_lshlrev_b32_e32 v1, 26, v9
	v_mov_b32_e32 v0, v5
	v_cmp_gt_i64_e32 vcc, 0, v[0:1]
	v_not_b32_e32 v0, v1
	v_ashrrev_i32_e32 v0, 31, v0
	v_xor_b32_e32 v1, vcc_hi, v0
	v_xor_b32_e32 v0, vcc_lo, v0
	v_and_b32_e32 v15, v15, v1
	v_and_b32_e32 v16, v16, v0
	v_lshlrev_b32_e32 v1, 25, v9
	v_mov_b32_e32 v0, v5
	v_cmp_gt_i64_e32 vcc, 0, v[0:1]
	v_not_b32_e32 v0, v1
	v_ashrrev_i32_e32 v0, 31, v0
	v_xor_b32_e32 v1, vcc_hi, v0
	v_xor_b32_e32 v0, vcc_lo, v0
	v_and_b32_e32 v15, v15, v1
	v_and_b32_e32 v16, v16, v0
	v_lshlrev_b32_e32 v1, 24, v9
	v_mov_b32_e32 v0, v5
	v_cmp_gt_i64_e32 vcc, 0, v[0:1]
	v_not_b32_e32 v0, v1
	v_ashrrev_i32_e32 v0, 31, v0
	v_xor_b32_e32 v1, vcc_hi, v0
	v_xor_b32_e32 v0, vcc_lo, v0
	ds_read_b32 v13, v14 offset:64
	v_and_b32_e32 v0, v16, v0
	v_and_b32_e32 v1, v15, v1
	v_mbcnt_lo_u32_b32 v9, v0, 0
	v_mbcnt_hi_u32_b32 v16, v1, v9
	v_cmp_eq_u32_e32 vcc, 0, v16
	v_cmp_ne_u64_e64 s[0:1], 0, v[0:1]
	s_and_b64 s[4:5], s[0:1], vcc
	; wave barrier
	s_and_saveexec_b64 s[0:1], s[4:5]
	s_cbranch_execz .LBB15_140
; %bb.139:
	v_bcnt_u32_b32 v0, v0, 0
	v_bcnt_u32_b32 v0, v1, v0
	s_waitcnt lgkmcnt(0)
	v_add_u32_e32 v0, v13, v0
	ds_write_b32 v14, v0 offset:64
.LBB15_140:
	s_or_b64 exec, exec, s[0:1]
	s_waitcnt vmcnt(9)
	v_xor_b32_e32 v15, 0x7fffffff, v8
	v_lshrrev_b32_e32 v0, s68, v15
	v_and_b32_e32 v22, s14, v0
	v_lshl_add_u32 v0, v22, 4, v22
	v_add_lshl_u32 v18, v20, v0, 2
	v_and_b32_e32 v0, 1, v22
	v_mov_b32_e32 v1, 0
	v_lshl_add_u64 v[8:9], v[0:1], 0, -1
	v_cmp_ne_u32_e32 vcc, 0, v0
	; wave barrier
	s_nop 1
	v_xor_b32_e32 v8, vcc_lo, v8
	v_xor_b32_e32 v0, vcc_hi, v9
	v_and_b32_e32 v23, exec_lo, v8
	v_lshlrev_b32_e32 v9, 30, v22
	v_mov_b32_e32 v8, v1
	v_cmp_gt_i64_e32 vcc, 0, v[8:9]
	v_not_b32_e32 v8, v9
	v_ashrrev_i32_e32 v8, 31, v8
	v_and_b32_e32 v0, exec_hi, v0
	v_xor_b32_e32 v9, vcc_hi, v8
	v_xor_b32_e32 v8, vcc_lo, v8
	v_and_b32_e32 v0, v0, v9
	v_and_b32_e32 v23, v23, v8
	v_lshlrev_b32_e32 v9, 29, v22
	v_mov_b32_e32 v8, v1
	v_cmp_gt_i64_e32 vcc, 0, v[8:9]
	v_not_b32_e32 v8, v9
	v_ashrrev_i32_e32 v8, 31, v8
	v_xor_b32_e32 v9, vcc_hi, v8
	v_xor_b32_e32 v8, vcc_lo, v8
	v_and_b32_e32 v0, v0, v9
	v_and_b32_e32 v23, v23, v8
	v_lshlrev_b32_e32 v9, 28, v22
	v_mov_b32_e32 v8, v1
	v_cmp_gt_i64_e32 vcc, 0, v[8:9]
	v_not_b32_e32 v8, v9
	v_ashrrev_i32_e32 v8, 31, v8
	;; [unrolled: 9-line block ×6, first 2 shown]
	v_xor_b32_e32 v9, vcc_hi, v8
	v_xor_b32_e32 v8, vcc_lo, v8
	ds_read_b32 v17, v18 offset:64
	v_and_b32_e32 v8, v23, v8
	v_and_b32_e32 v9, v0, v9
	v_mbcnt_lo_u32_b32 v0, v8, 0
	v_mbcnt_hi_u32_b32 v22, v9, v0
	v_cmp_eq_u32_e32 vcc, 0, v22
	v_cmp_ne_u64_e64 s[0:1], 0, v[8:9]
	s_and_b64 s[4:5], s[0:1], vcc
	; wave barrier
	s_and_saveexec_b64 s[0:1], s[4:5]
	s_cbranch_execz .LBB15_142
; %bb.141:
	v_bcnt_u32_b32 v0, v8, 0
	v_bcnt_u32_b32 v0, v9, v0
	s_waitcnt lgkmcnt(0)
	v_add_u32_e32 v0, v17, v0
	ds_write_b32 v18, v0 offset:64
.LBB15_142:
	s_or_b64 exec, exec, s[0:1]
	s_waitcnt vmcnt(8)
	v_xor_b32_e32 v21, 0x7fffffff, v21
	v_lshrrev_b32_e32 v0, s68, v21
	v_and_b32_e32 v27, s14, v0
	v_lshl_add_u32 v0, v27, 4, v27
	v_add_lshl_u32 v24, v20, v0, 2
	v_and_b32_e32 v0, 1, v27
	v_lshl_add_u64 v[8:9], v[0:1], 0, -1
	v_cmp_ne_u32_e32 vcc, 0, v0
	; wave barrier
	s_nop 1
	v_xor_b32_e32 v8, vcc_lo, v8
	v_xor_b32_e32 v0, vcc_hi, v9
	v_and_b32_e32 v28, exec_lo, v8
	v_lshlrev_b32_e32 v9, 30, v27
	v_mov_b32_e32 v8, v1
	v_cmp_gt_i64_e32 vcc, 0, v[8:9]
	v_not_b32_e32 v8, v9
	v_ashrrev_i32_e32 v8, 31, v8
	v_and_b32_e32 v0, exec_hi, v0
	v_xor_b32_e32 v9, vcc_hi, v8
	v_xor_b32_e32 v8, vcc_lo, v8
	v_and_b32_e32 v0, v0, v9
	v_and_b32_e32 v28, v28, v8
	v_lshlrev_b32_e32 v9, 29, v27
	v_mov_b32_e32 v8, v1
	v_cmp_gt_i64_e32 vcc, 0, v[8:9]
	v_not_b32_e32 v8, v9
	v_ashrrev_i32_e32 v8, 31, v8
	v_xor_b32_e32 v9, vcc_hi, v8
	v_xor_b32_e32 v8, vcc_lo, v8
	v_and_b32_e32 v0, v0, v9
	v_and_b32_e32 v28, v28, v8
	v_lshlrev_b32_e32 v9, 28, v27
	v_mov_b32_e32 v8, v1
	v_cmp_gt_i64_e32 vcc, 0, v[8:9]
	v_not_b32_e32 v8, v9
	v_ashrrev_i32_e32 v8, 31, v8
	;; [unrolled: 9-line block ×5, first 2 shown]
	v_xor_b32_e32 v9, vcc_hi, v8
	v_xor_b32_e32 v8, vcc_lo, v8
	v_and_b32_e32 v0, v0, v9
	v_lshlrev_b32_e32 v9, 24, v27
	v_and_b32_e32 v28, v28, v8
	v_mov_b32_e32 v8, v1
	v_not_b32_e32 v1, v9
	v_cmp_gt_i64_e32 vcc, 0, v[8:9]
	v_ashrrev_i32_e32 v1, 31, v1
	ds_read_b32 v23, v24 offset:64
	v_xor_b32_e32 v8, vcc_hi, v1
	v_xor_b32_e32 v9, vcc_lo, v1
	v_and_b32_e32 v1, v0, v8
	v_and_b32_e32 v0, v28, v9
	v_mbcnt_lo_u32_b32 v8, v0, 0
	v_mbcnt_hi_u32_b32 v27, v1, v8
	v_cmp_eq_u32_e32 vcc, 0, v27
	v_cmp_ne_u64_e64 s[0:1], 0, v[0:1]
	s_and_b64 s[4:5], s[0:1], vcc
	; wave barrier
	s_and_saveexec_b64 s[0:1], s[4:5]
	s_cbranch_execz .LBB15_144
; %bb.143:
	v_bcnt_u32_b32 v0, v0, 0
	v_bcnt_u32_b32 v0, v1, v0
	s_waitcnt lgkmcnt(0)
	v_add_u32_e32 v0, v23, v0
	ds_write_b32 v24, v0 offset:64
.LBB15_144:
	s_or_b64 exec, exec, s[0:1]
	s_waitcnt vmcnt(7)
	v_xor_b32_e32 v26, 0x7fffffff, v26
	v_lshrrev_b32_e32 v0, s68, v26
	v_and_b32_e32 v32, s14, v0
	v_lshl_add_u32 v0, v32, 4, v32
	v_add_lshl_u32 v29, v20, v0, 2
	v_and_b32_e32 v0, 1, v32
	v_mov_b32_e32 v1, 0
	v_lshl_add_u64 v[8:9], v[0:1], 0, -1
	v_cmp_ne_u32_e32 vcc, 0, v0
	; wave barrier
	s_nop 1
	v_xor_b32_e32 v8, vcc_lo, v8
	v_xor_b32_e32 v0, vcc_hi, v9
	v_and_b32_e32 v33, exec_lo, v8
	v_lshlrev_b32_e32 v9, 30, v32
	v_mov_b32_e32 v8, v1
	v_cmp_gt_i64_e32 vcc, 0, v[8:9]
	v_not_b32_e32 v8, v9
	v_ashrrev_i32_e32 v8, 31, v8
	v_and_b32_e32 v0, exec_hi, v0
	v_xor_b32_e32 v9, vcc_hi, v8
	v_xor_b32_e32 v8, vcc_lo, v8
	v_and_b32_e32 v0, v0, v9
	v_and_b32_e32 v33, v33, v8
	v_lshlrev_b32_e32 v9, 29, v32
	v_mov_b32_e32 v8, v1
	v_cmp_gt_i64_e32 vcc, 0, v[8:9]
	v_not_b32_e32 v8, v9
	v_ashrrev_i32_e32 v8, 31, v8
	v_xor_b32_e32 v9, vcc_hi, v8
	v_xor_b32_e32 v8, vcc_lo, v8
	v_and_b32_e32 v0, v0, v9
	v_and_b32_e32 v33, v33, v8
	v_lshlrev_b32_e32 v9, 28, v32
	v_mov_b32_e32 v8, v1
	v_cmp_gt_i64_e32 vcc, 0, v[8:9]
	v_not_b32_e32 v8, v9
	v_ashrrev_i32_e32 v8, 31, v8
	;; [unrolled: 9-line block ×6, first 2 shown]
	v_xor_b32_e32 v9, vcc_hi, v8
	v_xor_b32_e32 v8, vcc_lo, v8
	ds_read_b32 v28, v29 offset:64
	v_and_b32_e32 v8, v33, v8
	v_and_b32_e32 v9, v0, v9
	v_mbcnt_lo_u32_b32 v0, v8, 0
	v_mbcnt_hi_u32_b32 v32, v9, v0
	v_cmp_eq_u32_e32 vcc, 0, v32
	v_cmp_ne_u64_e64 s[0:1], 0, v[8:9]
	s_and_b64 s[4:5], s[0:1], vcc
	; wave barrier
	s_and_saveexec_b64 s[0:1], s[4:5]
	s_cbranch_execz .LBB15_146
; %bb.145:
	v_bcnt_u32_b32 v0, v8, 0
	v_bcnt_u32_b32 v0, v9, v0
	s_waitcnt lgkmcnt(0)
	v_add_u32_e32 v0, v28, v0
	ds_write_b32 v29, v0 offset:64
.LBB15_146:
	s_or_b64 exec, exec, s[0:1]
	s_waitcnt vmcnt(6)
	v_xor_b32_e32 v31, 0x7fffffff, v31
	v_lshrrev_b32_e32 v0, s68, v31
	v_and_b32_e32 v37, s14, v0
	v_lshl_add_u32 v0, v37, 4, v37
	v_add_lshl_u32 v34, v20, v0, 2
	v_and_b32_e32 v0, 1, v37
	v_lshl_add_u64 v[8:9], v[0:1], 0, -1
	v_cmp_ne_u32_e32 vcc, 0, v0
	; wave barrier
	s_nop 1
	v_xor_b32_e32 v8, vcc_lo, v8
	v_xor_b32_e32 v0, vcc_hi, v9
	v_and_b32_e32 v38, exec_lo, v8
	v_lshlrev_b32_e32 v9, 30, v37
	v_mov_b32_e32 v8, v1
	v_cmp_gt_i64_e32 vcc, 0, v[8:9]
	v_not_b32_e32 v8, v9
	v_ashrrev_i32_e32 v8, 31, v8
	v_and_b32_e32 v0, exec_hi, v0
	v_xor_b32_e32 v9, vcc_hi, v8
	v_xor_b32_e32 v8, vcc_lo, v8
	v_and_b32_e32 v0, v0, v9
	v_and_b32_e32 v38, v38, v8
	v_lshlrev_b32_e32 v9, 29, v37
	v_mov_b32_e32 v8, v1
	v_cmp_gt_i64_e32 vcc, 0, v[8:9]
	v_not_b32_e32 v8, v9
	v_ashrrev_i32_e32 v8, 31, v8
	v_xor_b32_e32 v9, vcc_hi, v8
	v_xor_b32_e32 v8, vcc_lo, v8
	v_and_b32_e32 v0, v0, v9
	v_and_b32_e32 v38, v38, v8
	v_lshlrev_b32_e32 v9, 28, v37
	v_mov_b32_e32 v8, v1
	v_cmp_gt_i64_e32 vcc, 0, v[8:9]
	v_not_b32_e32 v8, v9
	v_ashrrev_i32_e32 v8, 31, v8
	v_xor_b32_e32 v9, vcc_hi, v8
	v_xor_b32_e32 v8, vcc_lo, v8
	v_and_b32_e32 v0, v0, v9
	v_and_b32_e32 v38, v38, v8
	v_lshlrev_b32_e32 v9, 27, v37
	v_mov_b32_e32 v8, v1
	v_cmp_gt_i64_e32 vcc, 0, v[8:9]
	v_not_b32_e32 v8, v9
	v_ashrrev_i32_e32 v8, 31, v8
	v_xor_b32_e32 v9, vcc_hi, v8
	v_xor_b32_e32 v8, vcc_lo, v8
	v_and_b32_e32 v0, v0, v9
	v_and_b32_e32 v38, v38, v8
	v_lshlrev_b32_e32 v9, 26, v37
	v_mov_b32_e32 v8, v1
	v_cmp_gt_i64_e32 vcc, 0, v[8:9]
	v_not_b32_e32 v8, v9
	v_ashrrev_i32_e32 v8, 31, v8
	v_xor_b32_e32 v9, vcc_hi, v8
	v_xor_b32_e32 v8, vcc_lo, v8
	v_and_b32_e32 v0, v0, v9
	v_and_b32_e32 v38, v38, v8
	v_lshlrev_b32_e32 v9, 25, v37
	v_mov_b32_e32 v8, v1
	v_cmp_gt_i64_e32 vcc, 0, v[8:9]
	v_not_b32_e32 v8, v9
	v_ashrrev_i32_e32 v8, 31, v8
	v_xor_b32_e32 v9, vcc_hi, v8
	v_xor_b32_e32 v8, vcc_lo, v8
	v_and_b32_e32 v0, v0, v9
	v_lshlrev_b32_e32 v9, 24, v37
	v_and_b32_e32 v38, v38, v8
	v_mov_b32_e32 v8, v1
	v_not_b32_e32 v1, v9
	v_cmp_gt_i64_e32 vcc, 0, v[8:9]
	v_ashrrev_i32_e32 v1, 31, v1
	ds_read_b32 v33, v34 offset:64
	v_xor_b32_e32 v8, vcc_hi, v1
	v_xor_b32_e32 v9, vcc_lo, v1
	v_and_b32_e32 v1, v0, v8
	v_and_b32_e32 v0, v38, v9
	v_mbcnt_lo_u32_b32 v8, v0, 0
	v_mbcnt_hi_u32_b32 v37, v1, v8
	v_cmp_eq_u32_e32 vcc, 0, v37
	v_cmp_ne_u64_e64 s[0:1], 0, v[0:1]
	s_and_b64 s[4:5], s[0:1], vcc
	; wave barrier
	s_and_saveexec_b64 s[0:1], s[4:5]
	s_cbranch_execz .LBB15_148
; %bb.147:
	v_bcnt_u32_b32 v0, v0, 0
	v_bcnt_u32_b32 v0, v1, v0
	s_waitcnt lgkmcnt(0)
	v_add_u32_e32 v0, v33, v0
	ds_write_b32 v34, v0 offset:64
.LBB15_148:
	s_or_b64 exec, exec, s[0:1]
	s_waitcnt vmcnt(5)
	v_xor_b32_e32 v36, 0x7fffffff, v36
	v_lshrrev_b32_e32 v0, s68, v36
	v_and_b32_e32 v41, s14, v0
	v_lshl_add_u32 v0, v41, 4, v41
	v_add_lshl_u32 v39, v20, v0, 2
	v_and_b32_e32 v0, 1, v41
	v_mov_b32_e32 v1, 0
	v_lshl_add_u64 v[8:9], v[0:1], 0, -1
	v_cmp_ne_u32_e32 vcc, 0, v0
	; wave barrier
	s_nop 1
	v_xor_b32_e32 v8, vcc_lo, v8
	v_xor_b32_e32 v0, vcc_hi, v9
	v_and_b32_e32 v42, exec_lo, v8
	v_lshlrev_b32_e32 v9, 30, v41
	v_mov_b32_e32 v8, v1
	v_cmp_gt_i64_e32 vcc, 0, v[8:9]
	v_not_b32_e32 v8, v9
	v_ashrrev_i32_e32 v8, 31, v8
	v_and_b32_e32 v0, exec_hi, v0
	v_xor_b32_e32 v9, vcc_hi, v8
	v_xor_b32_e32 v8, vcc_lo, v8
	v_and_b32_e32 v0, v0, v9
	v_and_b32_e32 v42, v42, v8
	v_lshlrev_b32_e32 v9, 29, v41
	v_mov_b32_e32 v8, v1
	v_cmp_gt_i64_e32 vcc, 0, v[8:9]
	v_not_b32_e32 v8, v9
	v_ashrrev_i32_e32 v8, 31, v8
	v_xor_b32_e32 v9, vcc_hi, v8
	v_xor_b32_e32 v8, vcc_lo, v8
	v_and_b32_e32 v0, v0, v9
	v_and_b32_e32 v42, v42, v8
	v_lshlrev_b32_e32 v9, 28, v41
	v_mov_b32_e32 v8, v1
	v_cmp_gt_i64_e32 vcc, 0, v[8:9]
	v_not_b32_e32 v8, v9
	v_ashrrev_i32_e32 v8, 31, v8
	;; [unrolled: 9-line block ×6, first 2 shown]
	v_xor_b32_e32 v9, vcc_hi, v8
	v_xor_b32_e32 v8, vcc_lo, v8
	ds_read_b32 v38, v39 offset:64
	v_and_b32_e32 v8, v42, v8
	v_and_b32_e32 v9, v0, v9
	v_mbcnt_lo_u32_b32 v0, v8, 0
	v_mbcnt_hi_u32_b32 v41, v9, v0
	v_cmp_eq_u32_e32 vcc, 0, v41
	v_cmp_ne_u64_e64 s[0:1], 0, v[8:9]
	s_and_b64 s[4:5], s[0:1], vcc
	; wave barrier
	s_and_saveexec_b64 s[0:1], s[4:5]
	s_cbranch_execz .LBB15_150
; %bb.149:
	v_bcnt_u32_b32 v0, v8, 0
	v_bcnt_u32_b32 v0, v9, v0
	s_waitcnt lgkmcnt(0)
	v_add_u32_e32 v0, v38, v0
	ds_write_b32 v39, v0 offset:64
.LBB15_150:
	s_or_b64 exec, exec, s[0:1]
	s_waitcnt vmcnt(4)
	v_xor_b32_e32 v40, 0x7fffffff, v40
	v_lshrrev_b32_e32 v0, s68, v40
	v_and_b32_e32 v44, s14, v0
	v_lshl_add_u32 v0, v44, 4, v44
	v_add_lshl_u32 v43, v20, v0, 2
	v_and_b32_e32 v0, 1, v44
	v_lshl_add_u64 v[8:9], v[0:1], 0, -1
	v_cmp_ne_u32_e32 vcc, 0, v0
	; wave barrier
	s_nop 1
	v_xor_b32_e32 v8, vcc_lo, v8
	v_xor_b32_e32 v0, vcc_hi, v9
	v_and_b32_e32 v45, exec_lo, v8
	v_lshlrev_b32_e32 v9, 30, v44
	v_mov_b32_e32 v8, v1
	v_cmp_gt_i64_e32 vcc, 0, v[8:9]
	v_not_b32_e32 v8, v9
	v_ashrrev_i32_e32 v8, 31, v8
	v_and_b32_e32 v0, exec_hi, v0
	v_xor_b32_e32 v9, vcc_hi, v8
	v_xor_b32_e32 v8, vcc_lo, v8
	v_and_b32_e32 v0, v0, v9
	v_and_b32_e32 v45, v45, v8
	v_lshlrev_b32_e32 v9, 29, v44
	v_mov_b32_e32 v8, v1
	v_cmp_gt_i64_e32 vcc, 0, v[8:9]
	v_not_b32_e32 v8, v9
	v_ashrrev_i32_e32 v8, 31, v8
	v_xor_b32_e32 v9, vcc_hi, v8
	v_xor_b32_e32 v8, vcc_lo, v8
	v_and_b32_e32 v0, v0, v9
	v_and_b32_e32 v45, v45, v8
	v_lshlrev_b32_e32 v9, 28, v44
	v_mov_b32_e32 v8, v1
	v_cmp_gt_i64_e32 vcc, 0, v[8:9]
	v_not_b32_e32 v8, v9
	v_ashrrev_i32_e32 v8, 31, v8
	;; [unrolled: 9-line block ×5, first 2 shown]
	v_xor_b32_e32 v9, vcc_hi, v8
	v_xor_b32_e32 v8, vcc_lo, v8
	v_and_b32_e32 v0, v0, v9
	v_lshlrev_b32_e32 v9, 24, v44
	v_and_b32_e32 v45, v45, v8
	v_mov_b32_e32 v8, v1
	v_not_b32_e32 v1, v9
	v_cmp_gt_i64_e32 vcc, 0, v[8:9]
	v_ashrrev_i32_e32 v1, 31, v1
	ds_read_b32 v42, v43 offset:64
	v_xor_b32_e32 v8, vcc_hi, v1
	v_xor_b32_e32 v9, vcc_lo, v1
	v_and_b32_e32 v1, v0, v8
	v_and_b32_e32 v0, v45, v9
	v_mbcnt_lo_u32_b32 v8, v0, 0
	v_mbcnt_hi_u32_b32 v44, v1, v8
	v_cmp_eq_u32_e32 vcc, 0, v44
	v_cmp_ne_u64_e64 s[0:1], 0, v[0:1]
	s_and_b64 s[4:5], s[0:1], vcc
	; wave barrier
	s_and_saveexec_b64 s[0:1], s[4:5]
	s_cbranch_execz .LBB15_152
; %bb.151:
	v_bcnt_u32_b32 v0, v0, 0
	v_bcnt_u32_b32 v0, v1, v0
	s_waitcnt lgkmcnt(0)
	v_add_u32_e32 v0, v42, v0
	ds_write_b32 v43, v0 offset:64
.LBB15_152:
	s_or_b64 exec, exec, s[0:1]
	s_waitcnt vmcnt(3)
	v_xor_b32_e32 v35, 0x7fffffff, v35
	v_lshrrev_b32_e32 v0, s68, v35
	v_and_b32_e32 v47, s14, v0
	v_lshl_add_u32 v0, v47, 4, v47
	v_add_lshl_u32 v46, v20, v0, 2
	v_and_b32_e32 v0, 1, v47
	v_mov_b32_e32 v1, 0
	v_lshl_add_u64 v[8:9], v[0:1], 0, -1
	v_cmp_ne_u32_e32 vcc, 0, v0
	; wave barrier
	s_nop 1
	v_xor_b32_e32 v8, vcc_lo, v8
	v_xor_b32_e32 v0, vcc_hi, v9
	v_and_b32_e32 v48, exec_lo, v8
	v_lshlrev_b32_e32 v9, 30, v47
	v_mov_b32_e32 v8, v1
	v_cmp_gt_i64_e32 vcc, 0, v[8:9]
	v_not_b32_e32 v8, v9
	v_ashrrev_i32_e32 v8, 31, v8
	v_and_b32_e32 v0, exec_hi, v0
	v_xor_b32_e32 v9, vcc_hi, v8
	v_xor_b32_e32 v8, vcc_lo, v8
	v_and_b32_e32 v0, v0, v9
	v_and_b32_e32 v48, v48, v8
	v_lshlrev_b32_e32 v9, 29, v47
	v_mov_b32_e32 v8, v1
	v_cmp_gt_i64_e32 vcc, 0, v[8:9]
	v_not_b32_e32 v8, v9
	v_ashrrev_i32_e32 v8, 31, v8
	v_xor_b32_e32 v9, vcc_hi, v8
	v_xor_b32_e32 v8, vcc_lo, v8
	v_and_b32_e32 v0, v0, v9
	v_and_b32_e32 v48, v48, v8
	v_lshlrev_b32_e32 v9, 28, v47
	v_mov_b32_e32 v8, v1
	v_cmp_gt_i64_e32 vcc, 0, v[8:9]
	v_not_b32_e32 v8, v9
	v_ashrrev_i32_e32 v8, 31, v8
	;; [unrolled: 9-line block ×6, first 2 shown]
	v_xor_b32_e32 v9, vcc_hi, v8
	v_xor_b32_e32 v8, vcc_lo, v8
	ds_read_b32 v45, v46 offset:64
	v_and_b32_e32 v8, v48, v8
	v_and_b32_e32 v9, v0, v9
	v_mbcnt_lo_u32_b32 v0, v8, 0
	v_mbcnt_hi_u32_b32 v47, v9, v0
	v_cmp_eq_u32_e32 vcc, 0, v47
	v_cmp_ne_u64_e64 s[0:1], 0, v[8:9]
	s_and_b64 s[4:5], s[0:1], vcc
	; wave barrier
	s_and_saveexec_b64 s[0:1], s[4:5]
	s_cbranch_execz .LBB15_154
; %bb.153:
	v_bcnt_u32_b32 v0, v8, 0
	v_bcnt_u32_b32 v0, v9, v0
	s_waitcnt lgkmcnt(0)
	v_add_u32_e32 v0, v45, v0
	ds_write_b32 v46, v0 offset:64
.LBB15_154:
	s_or_b64 exec, exec, s[0:1]
	s_waitcnt vmcnt(2)
	v_xor_b32_e32 v30, 0x7fffffff, v30
	v_lshrrev_b32_e32 v0, s68, v30
	v_and_b32_e32 v50, s14, v0
	v_lshl_add_u32 v0, v50, 4, v50
	v_add_lshl_u32 v49, v20, v0, 2
	v_and_b32_e32 v0, 1, v50
	v_lshl_add_u64 v[8:9], v[0:1], 0, -1
	v_cmp_ne_u32_e32 vcc, 0, v0
	; wave barrier
	s_nop 1
	v_xor_b32_e32 v8, vcc_lo, v8
	v_xor_b32_e32 v0, vcc_hi, v9
	v_and_b32_e32 v51, exec_lo, v8
	v_lshlrev_b32_e32 v9, 30, v50
	v_mov_b32_e32 v8, v1
	v_cmp_gt_i64_e32 vcc, 0, v[8:9]
	v_not_b32_e32 v8, v9
	v_ashrrev_i32_e32 v8, 31, v8
	v_and_b32_e32 v0, exec_hi, v0
	v_xor_b32_e32 v9, vcc_hi, v8
	v_xor_b32_e32 v8, vcc_lo, v8
	v_and_b32_e32 v0, v0, v9
	v_and_b32_e32 v51, v51, v8
	v_lshlrev_b32_e32 v9, 29, v50
	v_mov_b32_e32 v8, v1
	v_cmp_gt_i64_e32 vcc, 0, v[8:9]
	v_not_b32_e32 v8, v9
	v_ashrrev_i32_e32 v8, 31, v8
	v_xor_b32_e32 v9, vcc_hi, v8
	v_xor_b32_e32 v8, vcc_lo, v8
	v_and_b32_e32 v0, v0, v9
	v_and_b32_e32 v51, v51, v8
	v_lshlrev_b32_e32 v9, 28, v50
	v_mov_b32_e32 v8, v1
	v_cmp_gt_i64_e32 vcc, 0, v[8:9]
	v_not_b32_e32 v8, v9
	v_ashrrev_i32_e32 v8, 31, v8
	;; [unrolled: 9-line block ×5, first 2 shown]
	v_xor_b32_e32 v9, vcc_hi, v8
	v_xor_b32_e32 v8, vcc_lo, v8
	v_and_b32_e32 v0, v0, v9
	v_lshlrev_b32_e32 v9, 24, v50
	v_and_b32_e32 v51, v51, v8
	v_mov_b32_e32 v8, v1
	v_not_b32_e32 v1, v9
	v_cmp_gt_i64_e32 vcc, 0, v[8:9]
	v_ashrrev_i32_e32 v1, 31, v1
	ds_read_b32 v48, v49 offset:64
	v_xor_b32_e32 v8, vcc_hi, v1
	v_xor_b32_e32 v9, vcc_lo, v1
	v_and_b32_e32 v1, v0, v8
	v_and_b32_e32 v0, v51, v9
	v_mbcnt_lo_u32_b32 v8, v0, 0
	v_mbcnt_hi_u32_b32 v51, v1, v8
	v_cmp_eq_u32_e32 vcc, 0, v51
	v_cmp_ne_u64_e64 s[0:1], 0, v[0:1]
	s_and_b64 s[4:5], s[0:1], vcc
	; wave barrier
	s_and_saveexec_b64 s[0:1], s[4:5]
	s_cbranch_execz .LBB15_156
; %bb.155:
	v_bcnt_u32_b32 v0, v0, 0
	v_bcnt_u32_b32 v0, v1, v0
	s_waitcnt lgkmcnt(0)
	v_add_u32_e32 v0, v48, v0
	ds_write_b32 v49, v0 offset:64
.LBB15_156:
	s_or_b64 exec, exec, s[0:1]
	s_waitcnt vmcnt(1)
	v_xor_b32_e32 v50, 0x7fffffff, v25
	v_lshrrev_b32_e32 v0, s68, v50
	v_and_b32_e32 v53, s14, v0
	v_lshl_add_u32 v0, v53, 4, v53
	v_add_lshl_u32 v25, v20, v0, 2
	v_and_b32_e32 v0, 1, v53
	v_mov_b32_e32 v1, 0
	v_lshl_add_u64 v[8:9], v[0:1], 0, -1
	v_cmp_ne_u32_e32 vcc, 0, v0
	; wave barrier
	s_nop 1
	v_xor_b32_e32 v8, vcc_lo, v8
	v_xor_b32_e32 v0, vcc_hi, v9
	v_and_b32_e32 v54, exec_lo, v8
	v_lshlrev_b32_e32 v9, 30, v53
	v_mov_b32_e32 v8, v1
	v_cmp_gt_i64_e32 vcc, 0, v[8:9]
	v_not_b32_e32 v8, v9
	v_ashrrev_i32_e32 v8, 31, v8
	v_and_b32_e32 v0, exec_hi, v0
	v_xor_b32_e32 v9, vcc_hi, v8
	v_xor_b32_e32 v8, vcc_lo, v8
	v_and_b32_e32 v0, v0, v9
	v_and_b32_e32 v54, v54, v8
	v_lshlrev_b32_e32 v9, 29, v53
	v_mov_b32_e32 v8, v1
	v_cmp_gt_i64_e32 vcc, 0, v[8:9]
	v_not_b32_e32 v8, v9
	v_ashrrev_i32_e32 v8, 31, v8
	v_xor_b32_e32 v9, vcc_hi, v8
	v_xor_b32_e32 v8, vcc_lo, v8
	v_and_b32_e32 v0, v0, v9
	v_and_b32_e32 v54, v54, v8
	v_lshlrev_b32_e32 v9, 28, v53
	v_mov_b32_e32 v8, v1
	v_cmp_gt_i64_e32 vcc, 0, v[8:9]
	v_not_b32_e32 v8, v9
	v_ashrrev_i32_e32 v8, 31, v8
	;; [unrolled: 9-line block ×6, first 2 shown]
	v_xor_b32_e32 v9, vcc_hi, v8
	v_xor_b32_e32 v8, vcc_lo, v8
	ds_read_b32 v52, v25 offset:64
	v_and_b32_e32 v8, v54, v8
	v_and_b32_e32 v9, v0, v9
	v_mbcnt_lo_u32_b32 v0, v8, 0
	v_mbcnt_hi_u32_b32 v54, v9, v0
	v_cmp_eq_u32_e32 vcc, 0, v54
	v_cmp_ne_u64_e64 s[0:1], 0, v[8:9]
	s_and_b64 s[4:5], s[0:1], vcc
	; wave barrier
	s_and_saveexec_b64 s[0:1], s[4:5]
	s_cbranch_execz .LBB15_158
; %bb.157:
	v_bcnt_u32_b32 v0, v8, 0
	v_bcnt_u32_b32 v0, v9, v0
	s_waitcnt lgkmcnt(0)
	v_add_u32_e32 v0, v52, v0
	ds_write_b32 v25, v0 offset:64
.LBB15_158:
	s_or_b64 exec, exec, s[0:1]
	s_waitcnt vmcnt(0)
	v_xor_b32_e32 v53, 0x7fffffff, v19
	v_lshrrev_b32_e32 v0, s68, v53
	v_and_b32_e32 v19, s14, v0
	v_lshl_add_u32 v0, v19, 4, v19
	v_add_lshl_u32 v55, v20, v0, 2
	v_and_b32_e32 v0, 1, v19
	v_lshl_add_u64 v[8:9], v[0:1], 0, -1
	v_cmp_ne_u32_e32 vcc, 0, v0
	; wave barrier
	s_nop 1
	v_xor_b32_e32 v8, vcc_lo, v8
	v_xor_b32_e32 v0, vcc_hi, v9
	v_and_b32_e32 v57, exec_lo, v8
	v_lshlrev_b32_e32 v9, 30, v19
	v_mov_b32_e32 v8, v1
	v_cmp_gt_i64_e32 vcc, 0, v[8:9]
	v_not_b32_e32 v8, v9
	v_ashrrev_i32_e32 v8, 31, v8
	v_and_b32_e32 v0, exec_hi, v0
	v_xor_b32_e32 v9, vcc_hi, v8
	v_xor_b32_e32 v8, vcc_lo, v8
	v_and_b32_e32 v0, v0, v9
	v_and_b32_e32 v57, v57, v8
	v_lshlrev_b32_e32 v9, 29, v19
	v_mov_b32_e32 v8, v1
	v_cmp_gt_i64_e32 vcc, 0, v[8:9]
	v_not_b32_e32 v8, v9
	v_ashrrev_i32_e32 v8, 31, v8
	v_xor_b32_e32 v9, vcc_hi, v8
	v_xor_b32_e32 v8, vcc_lo, v8
	v_and_b32_e32 v0, v0, v9
	v_and_b32_e32 v57, v57, v8
	v_lshlrev_b32_e32 v9, 28, v19
	v_mov_b32_e32 v8, v1
	v_cmp_gt_i64_e32 vcc, 0, v[8:9]
	v_not_b32_e32 v8, v9
	v_ashrrev_i32_e32 v8, 31, v8
	v_xor_b32_e32 v9, vcc_hi, v8
	v_xor_b32_e32 v8, vcc_lo, v8
	v_and_b32_e32 v0, v0, v9
	v_and_b32_e32 v57, v57, v8
	v_lshlrev_b32_e32 v9, 27, v19
	v_mov_b32_e32 v8, v1
	v_cmp_gt_i64_e32 vcc, 0, v[8:9]
	v_not_b32_e32 v8, v9
	v_ashrrev_i32_e32 v8, 31, v8
	v_xor_b32_e32 v9, vcc_hi, v8
	v_xor_b32_e32 v8, vcc_lo, v8
	v_and_b32_e32 v0, v0, v9
	v_and_b32_e32 v57, v57, v8
	v_lshlrev_b32_e32 v9, 26, v19
	v_mov_b32_e32 v8, v1
	v_cmp_gt_i64_e32 vcc, 0, v[8:9]
	v_not_b32_e32 v8, v9
	v_ashrrev_i32_e32 v8, 31, v8
	v_xor_b32_e32 v9, vcc_hi, v8
	v_xor_b32_e32 v8, vcc_lo, v8
	v_and_b32_e32 v0, v0, v9
	v_and_b32_e32 v57, v57, v8
	v_lshlrev_b32_e32 v9, 25, v19
	v_mov_b32_e32 v8, v1
	v_cmp_gt_i64_e32 vcc, 0, v[8:9]
	v_not_b32_e32 v8, v9
	v_ashrrev_i32_e32 v8, 31, v8
	v_xor_b32_e32 v9, vcc_hi, v8
	v_xor_b32_e32 v8, vcc_lo, v8
	v_and_b32_e32 v0, v0, v9
	v_lshlrev_b32_e32 v9, 24, v19
	v_and_b32_e32 v57, v57, v8
	v_mov_b32_e32 v8, v1
	v_not_b32_e32 v1, v9
	v_cmp_gt_i64_e32 vcc, 0, v[8:9]
	v_ashrrev_i32_e32 v1, 31, v1
	ds_read_b32 v20, v55 offset:64
	v_xor_b32_e32 v8, vcc_hi, v1
	v_xor_b32_e32 v9, vcc_lo, v1
	v_and_b32_e32 v1, v0, v8
	v_and_b32_e32 v0, v57, v9
	v_mbcnt_lo_u32_b32 v8, v0, 0
	v_mbcnt_hi_u32_b32 v57, v1, v8
	v_cmp_eq_u32_e32 vcc, 0, v57
	v_cmp_ne_u64_e64 s[0:1], 0, v[0:1]
	v_add_u32_e32 v56, 64, v7
	s_and_b64 s[4:5], s[0:1], vcc
	; wave barrier
	s_and_saveexec_b64 s[0:1], s[4:5]
	s_cbranch_execz .LBB15_160
; %bb.159:
	v_bcnt_u32_b32 v0, v0, 0
	v_bcnt_u32_b32 v0, v1, v0
	s_waitcnt lgkmcnt(0)
	v_add_u32_e32 v0, v20, v0
	ds_write_b32 v55, v0 offset:64
.LBB15_160:
	s_or_b64 exec, exec, s[0:1]
	; wave barrier
	s_waitcnt lgkmcnt(0)
	s_barrier
	ds_read2_b32 v[8:9], v7 offset0:16 offset1:17
	ds_read2_b32 v[0:1], v56 offset0:2 offset1:3
	ds_read_b32 v19, v56 offset:16
	v_cmp_lt_u32_e64 s[8:9], 31, v4
	s_waitcnt lgkmcnt(1)
	v_add3_u32 v58, v9, v8, v0
	s_waitcnt lgkmcnt(0)
	v_add3_u32 v19, v58, v1, v19
	v_and_b32_e32 v58, 15, v4
	v_cmp_eq_u32_e32 vcc, 0, v58
	v_mov_b32_dpp v59, v19 row_shr:1 row_mask:0xf bank_mask:0xf
	v_cmp_lt_u32_e64 s[0:1], 1, v58
	v_cndmask_b32_e64 v59, v59, 0, vcc
	v_add_u32_e32 v19, v59, v19
	v_cmp_lt_u32_e64 s[6:7], 3, v58
	v_cmp_lt_u32_e64 s[4:5], 7, v58
	v_mov_b32_dpp v59, v19 row_shr:2 row_mask:0xf bank_mask:0xf
	v_cndmask_b32_e64 v59, 0, v59, s[0:1]
	v_add_u32_e32 v19, v19, v59
	s_nop 1
	v_mov_b32_dpp v59, v19 row_shr:4 row_mask:0xf bank_mask:0xf
	v_cndmask_b32_e64 v59, 0, v59, s[6:7]
	v_add_u32_e32 v19, v19, v59
	s_nop 1
	v_mov_b32_dpp v59, v19 row_shr:8 row_mask:0xf bank_mask:0xf
	v_cndmask_b32_e64 v58, 0, v59, s[4:5]
	v_add_u32_e32 v19, v19, v58
	v_bfe_i32 v59, v4, 4, 1
	s_nop 0
	v_mov_b32_dpp v58, v19 row_bcast:15 row_mask:0xf bank_mask:0xf
	v_and_b32_e32 v58, v59, v58
	v_add_u32_e32 v19, v19, v58
	v_lshrrev_b32_e32 v59, 6, v2
	s_nop 0
	v_mov_b32_dpp v58, v19 row_bcast:31 row_mask:0xf bank_mask:0xf
	v_cndmask_b32_e64 v58, 0, v58, s[8:9]
	v_add_u32_e32 v58, v19, v58
	v_and_b32_e32 v19, 63, v2
	v_cmp_eq_u32_e64 s[8:9], 63, v19
	s_and_saveexec_b64 s[12:13], s[8:9]
	s_cbranch_execz .LBB15_162
; %bb.161:
	v_lshlrev_b32_e32 v19, 2, v59
	ds_write_b32 v19, v58
.LBB15_162:
	s_or_b64 exec, exec, s[12:13]
	v_cmp_gt_u32_e64 s[8:9], 16, v2
	v_lshlrev_b32_e32 v19, 2, v2
	s_waitcnt lgkmcnt(0)
	s_barrier
	s_and_saveexec_b64 s[12:13], s[8:9]
	s_cbranch_execz .LBB15_164
; %bb.163:
	ds_read_b32 v60, v19
	s_waitcnt lgkmcnt(0)
	s_nop 0
	v_mov_b32_dpp v61, v60 row_shr:1 row_mask:0xf bank_mask:0xf
	v_cndmask_b32_e64 v61, v61, 0, vcc
	v_add_u32_e32 v60, v61, v60
	s_nop 1
	v_mov_b32_dpp v61, v60 row_shr:2 row_mask:0xf bank_mask:0xf
	v_cndmask_b32_e64 v61, 0, v61, s[0:1]
	v_add_u32_e32 v60, v60, v61
	s_nop 1
	v_mov_b32_dpp v61, v60 row_shr:4 row_mask:0xf bank_mask:0xf
	v_cndmask_b32_e64 v61, 0, v61, s[6:7]
	;; [unrolled: 4-line block ×3, first 2 shown]
	v_add_u32_e32 v60, v60, v61
	ds_write_b32 v19, v60
.LBB15_164:
	s_or_b64 exec, exec, s[12:13]
	v_cmp_lt_u32_e32 vcc, 63, v2
	v_mov_b32_e32 v60, 0
	s_waitcnt lgkmcnt(0)
	s_barrier
	s_and_saveexec_b64 s[0:1], vcc
	s_cbranch_execz .LBB15_166
; %bb.165:
	v_lshl_add_u32 v59, v59, 2, -4
	ds_read_b32 v60, v59
.LBB15_166:
	s_or_b64 exec, exec, s[0:1]
	v_add_u32_e32 v59, -1, v4
	v_and_b32_e32 v61, 64, v4
	v_cmp_lt_i32_e32 vcc, v59, v61
	s_waitcnt lgkmcnt(0)
	v_add_u32_e32 v58, v60, v58
	s_movk_i32 s4, 0xff
	v_cndmask_b32_e32 v59, v59, v4, vcc
	v_lshlrev_b32_e32 v59, 2, v59
	ds_bpermute_b32 v58, v59, v58
	v_cmp_eq_u32_e32 vcc, 0, v4
	s_movk_i32 s5, 0x100
	v_cmp_lt_u32_e64 s[0:1], s4, v2
	s_waitcnt lgkmcnt(0)
	v_cndmask_b32_e32 v58, v58, v60, vcc
	v_cmp_ne_u32_e32 vcc, 0, v2
	s_nop 1
	v_cndmask_b32_e32 v58, 0, v58, vcc
	v_add_u32_e32 v8, v58, v8
	v_add_u32_e32 v9, v8, v9
	;; [unrolled: 1-line block ×4, first 2 shown]
	ds_write2_b32 v7, v58, v8 offset0:16 offset1:17
	ds_write2_b32 v56, v9, v0 offset0:2 offset1:3
	ds_write_b32 v56, v1 offset:16
	s_waitcnt lgkmcnt(0)
	s_barrier
	ds_read_b32 v9, v12 offset:64
	ds_read_b32 v12, v14 offset:64
	;; [unrolled: 1-line block ×12, first 2 shown]
	v_cmp_gt_u32_e32 vcc, s5, v2
	v_mov_b64_e32 v[0:1], 0
                                        ; implicit-def: $vgpr8
	s_and_saveexec_b64 s[6:7], vcc
	s_cbranch_execz .LBB15_170
; %bb.167:
	v_mul_u32_u24_e32 v0, 17, v2
	v_lshlrev_b32_e32 v7, 2, v0
	ds_read_b32 v0, v7 offset:64
	v_cmp_ne_u32_e64 s[4:5], s4, v2
	v_mov_b32_e32 v1, 0x3000
	s_and_saveexec_b64 s[8:9], s[4:5]
	s_cbranch_execz .LBB15_169
; %bb.168:
	ds_read_b32 v1, v7 offset:132
.LBB15_169:
	s_or_b64 exec, exec, s[8:9]
	s_waitcnt lgkmcnt(0)
	v_sub_u32_e32 v8, v1, v0
	v_mov_b32_e32 v1, 0
.LBB15_170:
	s_or_b64 exec, exec, s[6:7]
	s_waitcnt lgkmcnt(11)
	v_add_u32_e32 v9, v9, v11
	s_waitcnt lgkmcnt(10)
	v_add3_u32 v25, v16, v13, v12
	v_lshlrev_b32_e32 v11, 2, v9
	s_waitcnt lgkmcnt(9)
	v_add3_u32 v29, v22, v17, v14
	s_waitcnt lgkmcnt(0)
	s_barrier
	ds_write_b32 v11, v3 offset:2048
	v_lshlrev_b32_e32 v3, 2, v25
	v_add3_u32 v27, v27, v23, v18
	ds_write_b32 v3, v10 offset:2048
	v_lshlrev_b32_e32 v3, 2, v29
	v_add3_u32 v28, v32, v28, v24
	;; [unrolled: 3-line block ×9, first 2 shown]
	ds_write_b32 v3, v30 offset:2048
	v_lshlrev_b32_e32 v3, 2, v39
	v_mov_b32_e32 v7, v5
	ds_write_b32 v3, v50 offset:2048
	v_lshlrev_b32_e32 v3, 2, v41
	ds_write_b32 v3, v53 offset:2048
	s_waitcnt lgkmcnt(0)
	s_barrier
	s_and_saveexec_b64 s[4:5], s[0:1]
	s_xor_b64 s[0:1], exec, s[4:5]
; %bb.171:
	v_mov_b32_e32 v3, 0
; %bb.172:
	s_andn2_saveexec_b64 s[4:5], s[0:1]
	s_cbranch_execz .LBB15_182
; %bb.173:
	v_lshl_or_b32 v12, s2, 8, v2
	v_mov_b32_e32 v13, 0
	v_lshl_add_u64 v[10:11], v[12:13], 2, s[72:73]
	v_or_b32_e32 v3, 2.0, v8
	s_mov_b64 s[6:7], 0
	s_brev_b32 s15, 1
	s_mov_b32 s16, s2
	v_mov_b32_e32 v16, 0
	global_store_dword v[10:11], v3, off sc1
                                        ; implicit-def: $sgpr0_sgpr1
	s_branch .LBB15_176
.LBB15_174:                             ;   in Loop: Header=BB15_176 Depth=1
	s_or_b64 exec, exec, s[12:13]
.LBB15_175:                             ;   in Loop: Header=BB15_176 Depth=1
	s_or_b64 exec, exec, s[8:9]
	v_and_b32_e32 v12, 0x3fffffff, v12
	v_add_u32_e32 v16, v12, v16
	v_cmp_eq_u32_e64 s[0:1], s15, v3
	s_and_b64 s[8:9], exec, s[0:1]
	s_or_b64 s[6:7], s[8:9], s[6:7]
	s_andn2_b64 exec, exec, s[6:7]
	s_cbranch_execz .LBB15_181
.LBB15_176:                             ; =>This Loop Header: Depth=1
                                        ;     Child Loop BB15_179 Depth 2
	s_or_b64 s[0:1], s[0:1], exec
	s_cmp_eq_u32 s16, 0
	s_cbranch_scc1 .LBB15_180
; %bb.177:                              ;   in Loop: Header=BB15_176 Depth=1
	s_add_i32 s16, s16, -1
	v_lshl_or_b32 v12, s16, 8, v2
	v_lshl_add_u64 v[14:15], v[12:13], 2, s[72:73]
	global_load_dword v12, v[14:15], off sc1
	s_waitcnt vmcnt(0)
	v_and_b32_e32 v3, -2.0, v12
	v_cmp_eq_u32_e64 s[0:1], 0, v3
	s_and_saveexec_b64 s[8:9], s[0:1]
	s_cbranch_execz .LBB15_175
; %bb.178:                              ;   in Loop: Header=BB15_176 Depth=1
	s_mov_b64 s[12:13], 0
.LBB15_179:                             ;   Parent Loop BB15_176 Depth=1
                                        ; =>  This Inner Loop Header: Depth=2
	global_load_dword v12, v[14:15], off sc1
	s_waitcnt vmcnt(0)
	v_and_b32_e32 v3, -2.0, v12
	v_cmp_ne_u32_e64 s[0:1], 0, v3
	s_or_b64 s[12:13], s[0:1], s[12:13]
	s_andn2_b64 exec, exec, s[12:13]
	s_cbranch_execnz .LBB15_179
	s_branch .LBB15_174
.LBB15_180:                             ;   in Loop: Header=BB15_176 Depth=1
                                        ; implicit-def: $sgpr16
	s_and_b64 s[8:9], exec, s[0:1]
	s_or_b64 s[6:7], s[8:9], s[6:7]
	s_andn2_b64 exec, exec, s[6:7]
	s_cbranch_execnz .LBB15_176
.LBB15_181:
	s_or_b64 exec, exec, s[6:7]
	v_add_u32_e32 v3, v16, v8
	v_or_b32_e32 v3, 0x80000000, v3
	global_store_dword v[10:11], v3, off sc1
	v_lshlrev_b32_e32 v14, 3, v2
	global_load_dwordx2 v[10:11], v14, s[64:65]
	v_sub_co_u32_e64 v12, s[0:1], v16, v0
	v_mov_b32_e32 v3, 0
	s_nop 0
	v_subb_co_u32_e64 v13, s[0:1], 0, v1, s[0:1]
	s_waitcnt vmcnt(0)
	v_lshl_add_u64 v[10:11], v[12:13], 0, v[10:11]
	ds_write_b64 v14, v[10:11]
.LBB15_182:
	s_or_b64 exec, exec, s[4:5]
	s_waitcnt lgkmcnt(0)
	s_barrier
	ds_read2st64_b32 v[12:13], v19 offset0:24 offset1:40
	v_lshlrev_b32_e32 v10, 2, v2
	ds_read2st64_b32 v[14:15], v19 offset0:56 offset1:72
	ds_read_b32 v18, v10 offset:2048
	ds_read2st64_b32 v[16:17], v19 offset0:88 offset1:104
	s_waitcnt lgkmcnt(3)
	v_lshrrev_b32_e32 v11, s68, v12
	v_and_b32_e32 v11, s14, v11
	v_lshlrev_b32_e32 v31, 3, v11
	s_waitcnt lgkmcnt(2)
	v_lshrrev_b32_e32 v11, s68, v14
	v_and_b32_e32 v11, s14, v11
	s_waitcnt lgkmcnt(1)
	v_lshrrev_b32_e32 v24, s68, v18
	v_lshlrev_b32_e32 v35, 3, v11
	s_waitcnt lgkmcnt(0)
	v_lshrrev_b32_e32 v11, s68, v16
	v_and_b32_e32 v24, s14, v24
	v_and_b32_e32 v11, s14, v11
	v_lshlrev_b32_e32 v36, 3, v24
	v_lshlrev_b32_e32 v26, 3, v11
	ds_read_b64 v[10:11], v31
	ds_read_b64 v[20:21], v35
	;; [unrolled: 1-line block ×3, first 2 shown]
	v_lshrrev_b32_e32 v24, s68, v13
	ds_read_b64 v[42:43], v36
	v_and_b32_e32 v24, s14, v24
	v_lshlrev_b32_e32 v40, 3, v24
	v_lshrrev_b32_e32 v24, s68, v15
	v_and_b32_e32 v24, s14, v24
	v_lshlrev_b32_e32 v30, 3, v24
	v_lshrrev_b32_e32 v24, s68, v17
	v_and_b32_e32 v24, s14, v24
	s_waitcnt lgkmcnt(0)
	v_lshl_add_u64 v[42:43], v[42:43], 2, s[58:59]
	v_xor_b32_e32 v18, 0x7fffffff, v18
	v_lshlrev_b32_e32 v52, 3, v24
	ds_read_b64 v[44:45], v40
	ds_read_b64 v[46:47], v30
	;; [unrolled: 1-line block ×3, first 2 shown]
	v_lshl_add_u64 v[42:43], v[2:3], 2, v[42:43]
	global_store_dword v[42:43], v18, off
	v_lshl_add_u64 v[42:43], v[10:11], 2, s[58:59]
	v_or_b32_e32 v10, 0x1000, v19
	v_mov_b32_e32 v11, 0
	v_xor_b32_e32 v12, 0x7fffffff, v12
	v_lshl_add_u64 v[42:43], v[42:43], 0, v[10:11]
	global_store_dword v[42:43], v12, off
	v_xor_b32_e32 v18, 0x7fffffff, v13
	s_waitcnt lgkmcnt(2)
	v_lshl_add_u64 v[12:13], v[44:45], 2, s[58:59]
	v_or_b32_e32 v10, 0x2000, v19
	v_lshl_add_u64 v[12:13], v[12:13], 0, v[10:11]
	global_store_dword v[12:13], v18, off
	v_lshl_add_u64 v[12:13], v[20:21], 2, s[58:59]
	v_or_b32_e32 v10, 0x3000, v19
	v_xor_b32_e32 v14, 0x7fffffff, v14
	v_lshl_add_u64 v[12:13], v[12:13], 0, v[10:11]
	v_or_b32_e32 v10, 0x1000, v2
	global_store_dword v[12:13], v14, off
	v_xor_b32_e32 v18, 0x7fffffff, v15
	s_waitcnt lgkmcnt(1)
	v_lshl_add_u64 v[12:13], v[46:47], 2, s[58:59]
	v_lshlrev_b32_e32 v14, 2, v10
	v_mov_b32_e32 v15, v11
	v_lshl_add_u64 v[12:13], v[12:13], 0, v[14:15]
	global_store_dword v[12:13], v18, off
	v_or_b32_e32 v12, 0x1400, v2
	v_lshl_add_u64 v[14:15], v[22:23], 2, s[58:59]
	v_lshlrev_b32_e32 v20, 2, v12
	v_mov_b32_e32 v21, v11
	ds_read2st64_b32 v[22:23], v19 offset0:120 offset1:136
	v_xor_b32_e32 v13, 0x7fffffff, v16
	v_lshl_add_u64 v[14:15], v[14:15], 0, v[20:21]
	global_store_dword v[14:15], v13, off
	v_or_b32_e32 v14, 0x1800, v2
	v_xor_b32_e32 v13, 0x7fffffff, v17
	s_waitcnt lgkmcnt(1)
	v_lshl_add_u64 v[16:17], v[48:49], 2, s[58:59]
	v_lshlrev_b32_e32 v20, 2, v14
	v_lshl_add_u64 v[16:17], v[16:17], 0, v[20:21]
	ds_read2st64_b32 v[42:43], v19 offset0:152 offset1:168
	global_store_dword v[16:17], v13, off
	s_waitcnt lgkmcnt(1)
	v_lshrrev_b32_e32 v13, s68, v22
	v_and_b32_e32 v13, s14, v13
	v_lshlrev_b32_e32 v53, 3, v13
	v_lshrrev_b32_e32 v13, s68, v23
	v_and_b32_e32 v13, s14, v13
	v_lshlrev_b32_e32 v54, 3, v13
	s_waitcnt lgkmcnt(0)
	v_lshrrev_b32_e32 v13, s68, v42
	ds_read_b64 v[20:21], v53
	v_and_b32_e32 v13, s14, v13
	v_lshlrev_b32_e32 v55, 3, v13
	v_lshrrev_b32_e32 v13, s68, v43
	v_and_b32_e32 v13, s14, v13
	v_or_b32_e32 v16, 0x1c00, v2
	v_lshlrev_b32_e32 v56, 3, v13
	ds_read_b64 v[44:45], v54
	ds_read_b64 v[46:47], v55
	;; [unrolled: 1-line block ×3, first 2 shown]
	s_waitcnt lgkmcnt(3)
	v_lshl_add_u64 v[20:21], v[20:21], 2, s[58:59]
	v_lshlrev_b32_e32 v50, 2, v16
	v_mov_b32_e32 v51, v11
	v_xor_b32_e32 v15, 0x7fffffff, v22
	v_lshl_add_u64 v[20:21], v[20:21], 0, v[50:51]
	v_or_b32_e32 v18, 0x2000, v2
	global_store_dword v[20:21], v15, off
	v_xor_b32_e32 v13, 0x7fffffff, v23
	s_waitcnt lgkmcnt(2)
	v_lshl_add_u64 v[20:21], v[44:45], 2, s[58:59]
	v_lshlrev_b32_e32 v22, 2, v18
	v_mov_b32_e32 v23, v11
	v_lshl_add_u64 v[20:21], v[20:21], 0, v[22:23]
	global_store_dword v[20:21], v13, off
	v_or_b32_e32 v20, 0x2400, v2
	s_waitcnt lgkmcnt(1)
	v_lshl_add_u64 v[22:23], v[46:47], 2, s[58:59]
	v_lshlrev_b32_e32 v44, 2, v20
	v_mov_b32_e32 v45, v11
	v_xor_b32_e32 v13, 0x7fffffff, v42
	v_lshl_add_u64 v[22:23], v[22:23], 0, v[44:45]
	global_store_dword v[22:23], v13, off
	ds_read_b32 v13, v19 offset:47104
	v_xor_b32_e32 v15, 0x7fffffff, v43
	s_waitcnt lgkmcnt(1)
	v_lshl_add_u64 v[42:43], v[48:49], 2, s[58:59]
	v_or_b32_e32 v22, 0x2800, v2
	v_lshlrev_b32_e32 v44, 2, v22
	s_waitcnt lgkmcnt(0)
	v_lshrrev_b32_e32 v17, s68, v13
	v_and_b32_e32 v17, s14, v17
	v_lshlrev_b32_e32 v48, 3, v17
	ds_read_b64 v[46:47], v48
	v_lshl_add_u64 v[42:43], v[42:43], 0, v[44:45]
	v_or_b32_e32 v24, 0x2c00, v2
	s_add_u32 s0, s60, s54
	global_store_dword v[42:43], v15, off
	s_waitcnt lgkmcnt(0)
	v_lshl_add_u64 v[42:43], v[46:47], 2, s[58:59]
	v_lshlrev_b32_e32 v44, 2, v24
	s_addc_u32 s1, s61, 0
	v_xor_b32_e32 v13, 0x7fffffff, v13
	v_lshl_add_u64 v[42:43], v[42:43], 0, v[44:45]
	v_lshl_add_u64 v[4:5], s[0:1], 0, v[4:5]
	global_store_dword v[42:43], v13, off
	v_lshl_add_u64 v[4:5], v[4:5], 0, v[6:7]
	global_load_ubyte v6, v[4:5], off
	global_load_ubyte v7, v[4:5], off offset:64
	global_load_ubyte v42, v[4:5], off offset:128
	;; [unrolled: 1-line block ×11, first 2 shown]
	s_barrier
	v_mov_b32_e32 v13, v11
	v_mov_b32_e32 v15, v11
	;; [unrolled: 1-line block ×6, first 2 shown]
	s_add_i32 s3, s3, -1
	s_cmp_eq_u32 s2, s3
	s_cselect_b64 s[0:1], -1, 0
	s_and_b64 s[2:3], vcc, s[0:1]
	s_waitcnt vmcnt(11)
	ds_write_b8 v9, v6 offset:2048
	s_waitcnt vmcnt(10)
	ds_write_b8 v25, v7 offset:2048
	;; [unrolled: 2-line block ×12, first 2 shown]
	s_waitcnt lgkmcnt(0)
	s_barrier
	ds_read_b64 v[4:5], v36
	ds_read_b64 v[6:7], v31
	;; [unrolled: 1-line block ×4, first 2 shown]
	ds_read_u8 v9, v2 offset:2048
	ds_read_u8 v27, v2 offset:3072
	;; [unrolled: 1-line block ×8, first 2 shown]
	v_mov_b32_e32 v25, v11
	s_waitcnt lgkmcnt(11)
	v_lshl_add_u64 v[4:5], s[62:63], 0, v[4:5]
	v_lshl_add_u64 v[4:5], v[4:5], 0, v[2:3]
	s_waitcnt lgkmcnt(7)
	global_store_byte v[4:5], v9, off
	v_lshl_add_u64 v[4:5], s[62:63], 0, v[6:7]
	v_lshl_add_u64 v[4:5], v[4:5], 0, v[2:3]
	s_waitcnt lgkmcnt(6)
	global_store_byte v[4:5], v27, off offset:1024
	v_lshl_add_u64 v[4:5], s[62:63], 0, v[28:29]
	v_lshl_add_u64 v[4:5], v[4:5], 0, v[2:3]
	s_waitcnt lgkmcnt(5)
	global_store_byte v[4:5], v31, off offset:2048
	v_lshl_add_u64 v[4:5], s[62:63], 0, v[32:33]
	v_lshl_add_u64 v[4:5], v[4:5], 0, v[2:3]
	ds_read_b64 v[6:7], v30
	s_waitcnt lgkmcnt(5)
	global_store_byte v[4:5], v34, off offset:3072
	ds_read_b64 v[4:5], v26
	ds_read_b64 v[26:27], v52
	;; [unrolled: 1-line block ×3, first 2 shown]
	s_waitcnt lgkmcnt(3)
	v_lshl_add_u64 v[6:7], s[62:63], 0, v[6:7]
	s_waitcnt lgkmcnt(2)
	v_lshl_add_u64 v[4:5], s[62:63], 0, v[4:5]
	v_lshl_add_u64 v[6:7], v[6:7], 0, v[10:11]
	;; [unrolled: 1-line block ×3, first 2 shown]
	global_store_byte v[6:7], v35, off
	global_store_byte v[4:5], v36, off
	s_waitcnt lgkmcnt(1)
	v_lshl_add_u64 v[4:5], s[62:63], 0, v[26:27]
	v_lshl_add_u64 v[4:5], v[4:5], 0, v[14:15]
	global_store_byte v[4:5], v37, off
	s_waitcnt lgkmcnt(0)
	v_lshl_add_u64 v[4:5], s[62:63], 0, v[28:29]
	v_lshl_add_u64 v[4:5], v[4:5], 0, v[16:17]
	ds_read_b64 v[6:7], v54
	global_store_byte v[4:5], v38, off
	ds_read_b64 v[4:5], v55
	ds_read_b64 v[12:13], v56
	;; [unrolled: 1-line block ×3, first 2 shown]
	ds_read_u8 v9, v2 offset:10240
	ds_read_u8 v10, v2 offset:11264
	;; [unrolled: 1-line block ×4, first 2 shown]
	s_waitcnt lgkmcnt(7)
	v_lshl_add_u64 v[6:7], s[62:63], 0, v[6:7]
	s_waitcnt lgkmcnt(6)
	v_lshl_add_u64 v[4:5], s[62:63], 0, v[4:5]
	v_lshl_add_u64 v[6:7], v[6:7], 0, v[18:19]
	;; [unrolled: 1-line block ×3, first 2 shown]
	s_waitcnt lgkmcnt(3)
	global_store_byte v[6:7], v9, off
	s_waitcnt lgkmcnt(2)
	global_store_byte v[4:5], v10, off
	v_lshl_add_u64 v[4:5], s[62:63], 0, v[12:13]
	v_lshl_add_u64 v[4:5], v[4:5], 0, v[22:23]
	s_waitcnt lgkmcnt(1)
	global_store_byte v[4:5], v16, off
	v_lshl_add_u64 v[4:5], s[62:63], 0, v[14:15]
	v_lshl_add_u64 v[4:5], v[4:5], 0, v[24:25]
	s_waitcnt lgkmcnt(0)
	global_store_byte v[4:5], v17, off
                                        ; implicit-def: $vgpr4_vgpr5
	s_and_saveexec_b64 s[0:1], s[2:3]
; %bb.183:
	v_mov_b32_e32 v9, v11
	v_lshl_add_u64 v[4:5], v[0:1], 0, v[8:9]
	s_or_b64 s[10:11], s[10:11], exec
; %bb.184:
	s_or_b64 exec, exec, s[0:1]
.LBB15_185:
	s_and_saveexec_b64 s[0:1], s[10:11]
	s_cbranch_execnz .LBB15_187
; %bb.186:
	s_endpgm
.LBB15_187:
	v_lshlrev_b32_e32 v0, 3, v2
	ds_read_b64 v[0:1], v0
	v_mov_b32_e32 v6, s66
	v_mov_b32_e32 v7, s67
	v_lshl_add_u64 v[2:3], v[2:3], 3, v[6:7]
	s_waitcnt lgkmcnt(0)
	v_lshl_add_u64 v[0:1], v[0:1], 0, v[4:5]
	global_store_dwordx2 v[2:3], v[0:1], off
	s_endpgm
.LBB15_188:
	global_load_ubyte v3, v[4:5], off
	s_or_b64 exec, exec, s[70:71]
                                        ; implicit-def: $vgpr6
	s_and_saveexec_b64 s[70:71], s[52:53]
	s_cbranch_execz .LBB15_95
.LBB15_189:
	global_load_ubyte v6, v[4:5], off offset:64
	s_or_b64 exec, exec, s[70:71]
                                        ; implicit-def: $vgpr7
	s_and_saveexec_b64 s[52:53], s[4:5]
	s_cbranch_execz .LBB15_96
.LBB15_190:
	global_load_ubyte v7, v[4:5], off offset:128
	s_or_b64 exec, exec, s[52:53]
                                        ; implicit-def: $vgpr13
	s_and_saveexec_b64 s[4:5], s[6:7]
	s_cbranch_execz .LBB15_97
.LBB15_191:
	global_load_ubyte v13, v[4:5], off offset:192
	s_or_b64 exec, exec, s[4:5]
                                        ; implicit-def: $vgpr15
	s_and_saveexec_b64 s[4:5], s[8:9]
	s_cbranch_execz .LBB15_98
.LBB15_192:
	global_load_ubyte v15, v[4:5], off offset:256
	s_or_b64 exec, exec, s[4:5]
                                        ; implicit-def: $vgpr17
	s_and_saveexec_b64 s[4:5], s[10:11]
	s_cbranch_execz .LBB15_99
.LBB15_193:
	global_load_ubyte v17, v[4:5], off offset:320
	s_or_b64 exec, exec, s[4:5]
                                        ; implicit-def: $vgpr19
	s_and_saveexec_b64 s[4:5], s[12:13]
	s_cbranch_execz .LBB15_100
.LBB15_194:
	global_load_ubyte v19, v[4:5], off offset:384
	s_or_b64 exec, exec, s[4:5]
                                        ; implicit-def: $vgpr23
	s_and_saveexec_b64 s[4:5], s[14:15]
	s_cbranch_execz .LBB15_101
.LBB15_195:
	global_load_ubyte v23, v[4:5], off offset:448
	s_or_b64 exec, exec, s[4:5]
                                        ; implicit-def: $vgpr38
	s_and_saveexec_b64 s[4:5], s[16:17]
	s_cbranch_execz .LBB15_102
.LBB15_196:
	global_load_ubyte v38, v[4:5], off offset:512
	s_or_b64 exec, exec, s[4:5]
                                        ; implicit-def: $vgpr41
	s_and_saveexec_b64 s[4:5], s[18:19]
	s_cbranch_execz .LBB15_103
.LBB15_197:
	global_load_ubyte v41, v[4:5], off offset:576
	s_or_b64 exec, exec, s[4:5]
                                        ; implicit-def: $vgpr44
	s_and_saveexec_b64 s[4:5], s[20:21]
	s_cbranch_execz .LBB15_104
.LBB15_198:
	global_load_ubyte v44, v[4:5], off offset:640
	s_or_b64 exec, exec, s[4:5]
                                        ; implicit-def: $vgpr48
	s_and_saveexec_b64 s[4:5], s[22:23]
	s_cbranch_execz .LBB15_105
.LBB15_199:
	global_load_ubyte v48, v[4:5], off offset:704
	s_or_b64 exec, exec, s[4:5]
                                        ; implicit-def: $vgpr49
	s_and_saveexec_b64 s[4:5], s[26:27]
	s_cbranch_execz .LBB15_106
.LBB15_200:
	ds_read_b32 v4, v12 offset:2048
	s_waitcnt lgkmcnt(0)
	v_lshrrev_b32_e32 v4, s68, v4
	v_and_b32_e32 v49, s33, v4
	s_or_b64 exec, exec, s[4:5]
                                        ; implicit-def: $vgpr47
	s_and_saveexec_b64 s[4:5], s[28:29]
	s_cbranch_execz .LBB15_107
.LBB15_201:
	ds_read_b32 v4, v12 offset:6144
	s_waitcnt lgkmcnt(0)
	v_lshrrev_b32_e32 v4, s68, v4
	v_and_b32_e32 v47, s33, v4
	s_or_b64 exec, exec, s[4:5]
                                        ; implicit-def: $vgpr46
	s_and_saveexec_b64 s[4:5], s[30:31]
	s_cbranch_execz .LBB15_108
.LBB15_202:
	ds_read_b32 v4, v12 offset:10240
	s_waitcnt lgkmcnt(0)
	v_lshrrev_b32_e32 v4, s68, v4
	v_and_b32_e32 v46, s33, v4
	s_or_b64 exec, exec, s[4:5]
                                        ; implicit-def: $vgpr45
	s_and_saveexec_b64 s[4:5], s[34:35]
	s_cbranch_execz .LBB15_109
.LBB15_203:
	ds_read_b32 v4, v12 offset:14336
	s_waitcnt lgkmcnt(0)
	v_lshrrev_b32_e32 v4, s68, v4
	v_and_b32_e32 v45, s33, v4
	s_or_b64 exec, exec, s[4:5]
                                        ; implicit-def: $vgpr43
	s_and_saveexec_b64 s[4:5], s[36:37]
	s_cbranch_execz .LBB15_110
.LBB15_204:
	ds_read_b32 v4, v12 offset:18432
	s_waitcnt lgkmcnt(0)
	v_lshrrev_b32_e32 v4, s68, v4
	v_and_b32_e32 v43, s33, v4
	s_or_b64 exec, exec, s[4:5]
                                        ; implicit-def: $vgpr42
	s_and_saveexec_b64 s[4:5], s[38:39]
	s_cbranch_execz .LBB15_111
.LBB15_205:
	ds_read_b32 v4, v12 offset:22528
	s_waitcnt lgkmcnt(0)
	v_lshrrev_b32_e32 v4, s68, v4
	v_and_b32_e32 v42, s33, v4
	s_or_b64 exec, exec, s[4:5]
                                        ; implicit-def: $vgpr40
	s_and_saveexec_b64 s[4:5], s[40:41]
	s_cbranch_execz .LBB15_112
.LBB15_206:
	ds_read_b32 v4, v12 offset:26624
	s_waitcnt lgkmcnt(0)
	v_lshrrev_b32_e32 v4, s68, v4
	v_and_b32_e32 v40, s33, v4
	s_or_b64 exec, exec, s[4:5]
                                        ; implicit-def: $vgpr39
	s_and_saveexec_b64 s[4:5], s[42:43]
	s_cbranch_execz .LBB15_113
.LBB15_207:
	ds_read_b32 v4, v12 offset:30720
	s_waitcnt lgkmcnt(0)
	v_lshrrev_b32_e32 v4, s68, v4
	v_and_b32_e32 v39, s33, v4
	s_or_b64 exec, exec, s[4:5]
                                        ; implicit-def: $vgpr34
	s_and_saveexec_b64 s[4:5], s[44:45]
	s_cbranch_execnz .LBB15_114
	s_branch .LBB15_115
.LBB15_208:
	ds_read_b32 v5, v12 offset:38912
	s_waitcnt lgkmcnt(0)
	v_lshrrev_b32_e32 v5, s68, v5
	v_and_b32_e32 v29, s33, v5
	s_or_b64 exec, exec, s[4:5]
	s_and_saveexec_b64 s[4:5], s[48:49]
	s_cbranch_execz .LBB15_117
.LBB15_209:
	ds_read_b32 v4, v12 offset:43008
	s_waitcnt lgkmcnt(0)
	v_lshrrev_b32_e32 v4, s68, v4
	v_and_b32_e32 v4, s33, v4
	s_or_b64 exec, exec, s[4:5]
	v_mov_b32_e32 v5, 0
	s_and_saveexec_b64 s[4:5], s[50:51]
	s_cbranch_execnz .LBB15_118
	s_branch .LBB15_119
.LBB15_210:
	v_lshlrev_b32_e32 v3, 3, v49
	ds_read_b64 v[6:7], v3
	ds_read_u8 v9, v2 offset:2048
	v_mov_b32_e32 v3, 0
	s_waitcnt lgkmcnt(1)
	v_lshl_add_u64 v[6:7], s[62:63], 0, v[6:7]
	v_lshl_add_u64 v[6:7], v[6:7], 0, v[2:3]
	s_waitcnt lgkmcnt(0)
	global_store_byte v[6:7], v9, off
	s_or_b64 exec, exec, s[4:5]
	s_and_saveexec_b64 s[4:5], s[28:29]
	s_cbranch_execz .LBB15_121
.LBB15_211:
	v_lshlrev_b32_e32 v3, 3, v47
	ds_read_b64 v[6:7], v3
	ds_read_u8 v9, v2 offset:3072
	v_mov_b32_e32 v3, 0
	s_waitcnt lgkmcnt(1)
	v_lshl_add_u64 v[6:7], s[62:63], 0, v[6:7]
	v_lshl_add_u64 v[6:7], v[6:7], 0, v[2:3]
	s_waitcnt lgkmcnt(0)
	global_store_byte v[6:7], v9, off offset:1024
	s_or_b64 exec, exec, s[4:5]
	s_and_saveexec_b64 s[4:5], s[30:31]
	s_cbranch_execz .LBB15_122
.LBB15_212:
	v_lshlrev_b32_e32 v3, 3, v46
	ds_read_b64 v[6:7], v3
	ds_read_u8 v9, v2 offset:4096
	v_mov_b32_e32 v3, 0
	s_waitcnt lgkmcnt(1)
	v_lshl_add_u64 v[6:7], s[62:63], 0, v[6:7]
	v_lshl_add_u64 v[6:7], v[6:7], 0, v[2:3]
	s_waitcnt lgkmcnt(0)
	global_store_byte v[6:7], v9, off offset:2048
	s_or_b64 exec, exec, s[4:5]
	s_and_saveexec_b64 s[4:5], s[34:35]
	s_cbranch_execz .LBB15_123
.LBB15_213:
	v_lshlrev_b32_e32 v3, 3, v45
	ds_read_b64 v[6:7], v3
	ds_read_u8 v9, v2 offset:5120
	v_mov_b32_e32 v3, 0
	s_waitcnt lgkmcnt(1)
	v_lshl_add_u64 v[6:7], s[62:63], 0, v[6:7]
	v_lshl_add_u64 v[6:7], v[6:7], 0, v[2:3]
	s_waitcnt lgkmcnt(0)
	global_store_byte v[6:7], v9, off offset:3072
	s_or_b64 exec, exec, s[4:5]
	s_and_saveexec_b64 s[4:5], s[36:37]
	s_cbranch_execz .LBB15_124
.LBB15_214:
	v_lshlrev_b32_e32 v3, 3, v43
	ds_read_b64 v[6:7], v3
	ds_read_u8 v3, v2 offset:6144
	v_mov_b32_e32 v15, 0
	s_waitcnt lgkmcnt(1)
	v_lshl_add_u64 v[6:7], s[62:63], 0, v[6:7]
	v_lshl_add_u64 v[6:7], v[6:7], 0, v[14:15]
	s_waitcnt lgkmcnt(0)
	global_store_byte v[6:7], v3, off
	s_or_b64 exec, exec, s[4:5]
	s_and_saveexec_b64 s[4:5], s[38:39]
	s_cbranch_execz .LBB15_125
.LBB15_215:
	v_lshlrev_b32_e32 v3, 3, v42
	ds_read_b64 v[6:7], v3
	ds_read_u8 v3, v2 offset:7168
	v_mov_b32_e32 v17, 0
	s_waitcnt lgkmcnt(1)
	v_lshl_add_u64 v[6:7], s[62:63], 0, v[6:7]
	v_lshl_add_u64 v[6:7], v[6:7], 0, v[16:17]
	s_waitcnt lgkmcnt(0)
	global_store_byte v[6:7], v3, off
	s_or_b64 exec, exec, s[4:5]
	s_and_saveexec_b64 s[4:5], s[40:41]
	s_cbranch_execz .LBB15_126
.LBB15_216:
	v_lshlrev_b32_e32 v3, 3, v40
	ds_read_b64 v[6:7], v3
	ds_read_u8 v3, v2 offset:8192
	v_mov_b32_e32 v19, 0
	s_waitcnt lgkmcnt(1)
	v_lshl_add_u64 v[6:7], s[62:63], 0, v[6:7]
	v_lshl_add_u64 v[6:7], v[6:7], 0, v[18:19]
	s_waitcnt lgkmcnt(0)
	global_store_byte v[6:7], v3, off
	s_or_b64 exec, exec, s[4:5]
	s_and_saveexec_b64 s[4:5], s[42:43]
	s_cbranch_execz .LBB15_127
.LBB15_217:
	v_lshlrev_b32_e32 v3, 3, v39
	ds_read_b64 v[6:7], v3
	ds_read_u8 v3, v2 offset:9216
	v_mov_b32_e32 v21, 0
	s_waitcnt lgkmcnt(1)
	v_lshl_add_u64 v[6:7], s[62:63], 0, v[6:7]
	v_lshl_add_u64 v[6:7], v[6:7], 0, v[20:21]
	s_waitcnt lgkmcnt(0)
	global_store_byte v[6:7], v3, off
	s_or_b64 exec, exec, s[4:5]
	s_and_saveexec_b64 s[4:5], s[44:45]
	s_cbranch_execz .LBB15_128
.LBB15_218:
	v_lshlrev_b32_e32 v3, 3, v34
	ds_read_b64 v[6:7], v3
	ds_read_u8 v3, v2 offset:10240
	v_mov_b32_e32 v23, 0
	s_waitcnt lgkmcnt(1)
	v_lshl_add_u64 v[6:7], s[62:63], 0, v[6:7]
	v_lshl_add_u64 v[6:7], v[6:7], 0, v[22:23]
	s_waitcnt lgkmcnt(0)
	global_store_byte v[6:7], v3, off
	s_or_b64 exec, exec, s[4:5]
	s_and_saveexec_b64 s[4:5], s[46:47]
	s_cbranch_execz .LBB15_129
.LBB15_219:
	v_lshlrev_b32_e32 v3, 3, v29
	ds_read_b64 v[6:7], v3
	ds_read_u8 v3, v2 offset:11264
	v_mov_b32_e32 v25, 0
	s_waitcnt lgkmcnt(1)
	v_lshl_add_u64 v[6:7], s[62:63], 0, v[6:7]
	v_lshl_add_u64 v[6:7], v[6:7], 0, v[24:25]
	s_waitcnt lgkmcnt(0)
	global_store_byte v[6:7], v3, off
	s_or_b64 exec, exec, s[4:5]
	s_and_saveexec_b64 s[4:5], s[48:49]
	s_cbranch_execz .LBB15_130
.LBB15_220:
	v_lshlrev_b32_e32 v3, 3, v4
	ds_read_b64 v[6:7], v3
	ds_read_u8 v3, v2 offset:12288
	v_mov_b32_e32 v27, 0
	s_waitcnt lgkmcnt(1)
	v_lshl_add_u64 v[6:7], s[62:63], 0, v[6:7]
	v_lshl_add_u64 v[6:7], v[6:7], 0, v[26:27]
	s_waitcnt lgkmcnt(0)
	global_store_byte v[6:7], v3, off
	s_or_b64 exec, exec, s[4:5]
	s_and_saveexec_b64 s[4:5], s[50:51]
	s_cbranch_execnz .LBB15_131
	s_branch .LBB15_132
	.section	.rodata,"a",@progbits
	.p2align	6, 0x0
	.amdhsa_kernel _ZN7rocprim17ROCPRIM_304000_NS6detail25onesweep_iteration_kernelINS1_34wrapped_radix_sort_onesweep_configINS0_14default_configEiN2at4cuda3cub6detail10OpaqueTypeILi1EEEEELb1EPiSC_PSA_SD_mNS0_19identity_decomposerEEEvT1_T2_T3_T4_jPT5_SK_PNS1_23onesweep_lookback_stateET6_jjj
		.amdhsa_group_segment_fixed_size 51200
		.amdhsa_private_segment_fixed_size 0
		.amdhsa_kernarg_size 336
		.amdhsa_user_sgpr_count 2
		.amdhsa_user_sgpr_dispatch_ptr 0
		.amdhsa_user_sgpr_queue_ptr 0
		.amdhsa_user_sgpr_kernarg_segment_ptr 1
		.amdhsa_user_sgpr_dispatch_id 0
		.amdhsa_user_sgpr_kernarg_preload_length 0
		.amdhsa_user_sgpr_kernarg_preload_offset 0
		.amdhsa_user_sgpr_private_segment_size 0
		.amdhsa_uses_dynamic_stack 0
		.amdhsa_enable_private_segment 0
		.amdhsa_system_sgpr_workgroup_id_x 1
		.amdhsa_system_sgpr_workgroup_id_y 0
		.amdhsa_system_sgpr_workgroup_id_z 0
		.amdhsa_system_sgpr_workgroup_info 0
		.amdhsa_system_vgpr_workitem_id 2
		.amdhsa_next_free_vgpr 64
		.amdhsa_next_free_sgpr 74
		.amdhsa_accum_offset 64
		.amdhsa_reserve_vcc 1
		.amdhsa_float_round_mode_32 0
		.amdhsa_float_round_mode_16_64 0
		.amdhsa_float_denorm_mode_32 3
		.amdhsa_float_denorm_mode_16_64 3
		.amdhsa_dx10_clamp 1
		.amdhsa_ieee_mode 1
		.amdhsa_fp16_overflow 0
		.amdhsa_tg_split 0
		.amdhsa_exception_fp_ieee_invalid_op 0
		.amdhsa_exception_fp_denorm_src 0
		.amdhsa_exception_fp_ieee_div_zero 0
		.amdhsa_exception_fp_ieee_overflow 0
		.amdhsa_exception_fp_ieee_underflow 0
		.amdhsa_exception_fp_ieee_inexact 0
		.amdhsa_exception_int_div_zero 0
	.end_amdhsa_kernel
	.section	.text._ZN7rocprim17ROCPRIM_304000_NS6detail25onesweep_iteration_kernelINS1_34wrapped_radix_sort_onesweep_configINS0_14default_configEiN2at4cuda3cub6detail10OpaqueTypeILi1EEEEELb1EPiSC_PSA_SD_mNS0_19identity_decomposerEEEvT1_T2_T3_T4_jPT5_SK_PNS1_23onesweep_lookback_stateET6_jjj,"axG",@progbits,_ZN7rocprim17ROCPRIM_304000_NS6detail25onesweep_iteration_kernelINS1_34wrapped_radix_sort_onesweep_configINS0_14default_configEiN2at4cuda3cub6detail10OpaqueTypeILi1EEEEELb1EPiSC_PSA_SD_mNS0_19identity_decomposerEEEvT1_T2_T3_T4_jPT5_SK_PNS1_23onesweep_lookback_stateET6_jjj,comdat
.Lfunc_end15:
	.size	_ZN7rocprim17ROCPRIM_304000_NS6detail25onesweep_iteration_kernelINS1_34wrapped_radix_sort_onesweep_configINS0_14default_configEiN2at4cuda3cub6detail10OpaqueTypeILi1EEEEELb1EPiSC_PSA_SD_mNS0_19identity_decomposerEEEvT1_T2_T3_T4_jPT5_SK_PNS1_23onesweep_lookback_stateET6_jjj, .Lfunc_end15-_ZN7rocprim17ROCPRIM_304000_NS6detail25onesweep_iteration_kernelINS1_34wrapped_radix_sort_onesweep_configINS0_14default_configEiN2at4cuda3cub6detail10OpaqueTypeILi1EEEEELb1EPiSC_PSA_SD_mNS0_19identity_decomposerEEEvT1_T2_T3_T4_jPT5_SK_PNS1_23onesweep_lookback_stateET6_jjj
                                        ; -- End function
	.section	.AMDGPU.csdata,"",@progbits
; Kernel info:
; codeLenInByte = 19240
; NumSgprs: 80
; NumVgprs: 64
; NumAgprs: 0
; TotalNumVgprs: 64
; ScratchSize: 0
; MemoryBound: 0
; FloatMode: 240
; IeeeMode: 1
; LDSByteSize: 51200 bytes/workgroup (compile time only)
; SGPRBlocks: 9
; VGPRBlocks: 7
; NumSGPRsForWavesPerEU: 80
; NumVGPRsForWavesPerEU: 64
; AccumOffset: 64
; Occupancy: 4
; WaveLimiterHint : 1
; COMPUTE_PGM_RSRC2:SCRATCH_EN: 0
; COMPUTE_PGM_RSRC2:USER_SGPR: 2
; COMPUTE_PGM_RSRC2:TRAP_HANDLER: 0
; COMPUTE_PGM_RSRC2:TGID_X_EN: 1
; COMPUTE_PGM_RSRC2:TGID_Y_EN: 0
; COMPUTE_PGM_RSRC2:TGID_Z_EN: 0
; COMPUTE_PGM_RSRC2:TIDIG_COMP_CNT: 2
; COMPUTE_PGM_RSRC3_GFX90A:ACCUM_OFFSET: 15
; COMPUTE_PGM_RSRC3_GFX90A:TG_SPLIT: 0
	.section	.text._ZN7rocprim17ROCPRIM_304000_NS6detail28radix_sort_block_sort_kernelINS1_36wrapped_radix_sort_block_sort_configINS0_13kernel_configILj256ELj4ELj4294967295EEEiN2at4cuda3cub6detail10OpaqueTypeILi1EEEEELb0EPKiPiPKSB_PSB_NS0_19identity_decomposerEEEvT1_T2_T3_T4_jT5_jj,"axG",@progbits,_ZN7rocprim17ROCPRIM_304000_NS6detail28radix_sort_block_sort_kernelINS1_36wrapped_radix_sort_block_sort_configINS0_13kernel_configILj256ELj4ELj4294967295EEEiN2at4cuda3cub6detail10OpaqueTypeILi1EEEEELb0EPKiPiPKSB_PSB_NS0_19identity_decomposerEEEvT1_T2_T3_T4_jT5_jj,comdat
	.protected	_ZN7rocprim17ROCPRIM_304000_NS6detail28radix_sort_block_sort_kernelINS1_36wrapped_radix_sort_block_sort_configINS0_13kernel_configILj256ELj4ELj4294967295EEEiN2at4cuda3cub6detail10OpaqueTypeILi1EEEEELb0EPKiPiPKSB_PSB_NS0_19identity_decomposerEEEvT1_T2_T3_T4_jT5_jj ; -- Begin function _ZN7rocprim17ROCPRIM_304000_NS6detail28radix_sort_block_sort_kernelINS1_36wrapped_radix_sort_block_sort_configINS0_13kernel_configILj256ELj4ELj4294967295EEEiN2at4cuda3cub6detail10OpaqueTypeILi1EEEEELb0EPKiPiPKSB_PSB_NS0_19identity_decomposerEEEvT1_T2_T3_T4_jT5_jj
	.globl	_ZN7rocprim17ROCPRIM_304000_NS6detail28radix_sort_block_sort_kernelINS1_36wrapped_radix_sort_block_sort_configINS0_13kernel_configILj256ELj4ELj4294967295EEEiN2at4cuda3cub6detail10OpaqueTypeILi1EEEEELb0EPKiPiPKSB_PSB_NS0_19identity_decomposerEEEvT1_T2_T3_T4_jT5_jj
	.p2align	8
	.type	_ZN7rocprim17ROCPRIM_304000_NS6detail28radix_sort_block_sort_kernelINS1_36wrapped_radix_sort_block_sort_configINS0_13kernel_configILj256ELj4ELj4294967295EEEiN2at4cuda3cub6detail10OpaqueTypeILi1EEEEELb0EPKiPiPKSB_PSB_NS0_19identity_decomposerEEEvT1_T2_T3_T4_jT5_jj,@function
_ZN7rocprim17ROCPRIM_304000_NS6detail28radix_sort_block_sort_kernelINS1_36wrapped_radix_sort_block_sort_configINS0_13kernel_configILj256ELj4ELj4294967295EEEiN2at4cuda3cub6detail10OpaqueTypeILi1EEEEELb0EPKiPiPKSB_PSB_NS0_19identity_decomposerEEEvT1_T2_T3_T4_jT5_jj: ; @_ZN7rocprim17ROCPRIM_304000_NS6detail28radix_sort_block_sort_kernelINS1_36wrapped_radix_sort_block_sort_configINS0_13kernel_configILj256ELj4ELj4294967295EEEiN2at4cuda3cub6detail10OpaqueTypeILi1EEEEELb0EPKiPiPKSB_PSB_NS0_19identity_decomposerEEEvT1_T2_T3_T4_jT5_jj
; %bb.0:
	s_load_dword s4, s[0:1], 0x20
	s_load_dwordx8 s[36:43], s[0:1], 0x0
	s_lshl_b32 s28, s2, 10
	s_mov_b32 s29, 0
	v_and_b32_e32 v6, 0x3ff, v0
	s_waitcnt lgkmcnt(0)
	s_lshr_b32 s3, s4, 10
	s_cmp_lg_u32 s2, s3
	s_cselect_b64 s[30:31], -1, 0
	s_lshl_b64 s[34:35], s[28:29], 2
	v_mbcnt_lo_u32_b32 v1, -1, 0
	s_add_u32 s6, s36, s34
	v_mbcnt_hi_u32_b32 v10, -1, v1
	v_lshlrev_b32_e32 v8, 2, v6
	v_mov_b32_e32 v11, 0
	s_addc_u32 s7, s37, s35
	v_and_b32_e32 v12, 0x300, v8
	v_lshlrev_b32_e32 v2, 2, v10
	v_mov_b32_e32 v3, v11
	v_lshl_add_u64 v[2:3], s[6:7], 0, v[2:3]
	v_lshlrev_b32_e32 v4, 2, v12
	v_mov_b32_e32 v5, v11
	s_cmp_eq_u32 s2, s3
	v_mov_b32_e32 v13, v11
	v_lshl_add_u64 v[14:15], v[2:3], 0, v[4:5]
	v_add_u32_e32 v18, v10, v12
	s_cbranch_scc1 .LBB16_2
; %bb.1:
	s_add_u32 s2, s40, s28
	s_addc_u32 s3, s41, 0
	v_lshl_add_u64 v[16:17], s[2:3], 0, v[10:11]
	v_lshl_add_u64 v[16:17], v[16:17], 0, v[12:13]
	global_load_dword v2, v[14:15], off
	global_load_dword v3, v[14:15], off offset:256
	global_load_dword v4, v[14:15], off offset:512
	;; [unrolled: 1-line block ×3, first 2 shown]
	global_load_ubyte v1, v[16:17], off
	global_load_ubyte v34, v[16:17], off offset:64
	global_load_ubyte v35, v[16:17], off offset:128
	;; [unrolled: 1-line block ×3, first 2 shown]
	v_add_u32_e32 v17, v10, v12
	v_add_u32_e32 v7, 64, v17
	;; [unrolled: 1-line block ×4, first 2 shown]
	s_sub_i32 s29, s4, s28
	s_cbranch_execz .LBB16_3
	s_branch .LBB16_17
.LBB16_2:
                                        ; implicit-def: $vgpr2_vgpr3_vgpr4_vgpr5
                                        ; implicit-def: $vgpr1
                                        ; implicit-def: $vgpr34
                                        ; implicit-def: $vgpr35
                                        ; implicit-def: $vgpr36
                                        ; implicit-def: $vgpr17
                                        ; implicit-def: $vgpr7
                                        ; implicit-def: $vgpr9
                                        ; implicit-def: $vgpr16
	s_sub_i32 s29, s4, s28
.LBB16_3:
	s_brev_b32 s4, -2
	s_mov_b32 s5, s4
	s_mov_b32 s6, s4
	;; [unrolled: 1-line block ×3, first 2 shown]
	s_waitcnt vmcnt(4)
	v_mov_b64_e32 v[2:3], s[4:5]
	v_cmp_gt_u32_e32 vcc, s29, v18
	v_mov_b64_e32 v[4:5], s[6:7]
	s_and_saveexec_b64 s[2:3], vcc
	s_cbranch_execz .LBB16_5
; %bb.4:
	global_load_dword v2, v[14:15], off
	v_bfrev_b32_e32 v3, -2
	v_mov_b32_e32 v4, v3
	v_mov_b32_e32 v5, v3
.LBB16_5:
	s_or_b64 exec, exec, s[2:3]
	v_add_u32_e32 v7, 64, v18
	v_cmp_gt_u32_e64 s[2:3], s29, v7
	s_and_saveexec_b64 s[4:5], s[2:3]
	s_cbranch_execz .LBB16_7
; %bb.6:
	global_load_dword v3, v[14:15], off offset:256
.LBB16_7:
	s_or_b64 exec, exec, s[4:5]
	v_add_u32_e32 v9, 0x80, v18
	v_cmp_gt_u32_e64 s[4:5], s29, v9
	s_and_saveexec_b64 s[6:7], s[4:5]
	s_cbranch_execz .LBB16_9
; %bb.8:
	global_load_dword v4, v[14:15], off offset:512
.LBB16_9:
	;; [unrolled: 8-line block ×3, first 2 shown]
	s_or_b64 exec, exec, s[8:9]
	s_add_u32 s8, s40, s28
	s_addc_u32 s9, s41, 0
	v_lshl_add_u64 v[14:15], s[8:9], 0, v[10:11]
	v_lshl_add_u64 v[12:13], v[14:15], 0, v[12:13]
                                        ; implicit-def: $vgpr1
	s_and_saveexec_b64 s[8:9], vcc
	s_cbranch_execnz .LBB16_54
; %bb.12:
	s_or_b64 exec, exec, s[8:9]
                                        ; implicit-def: $vgpr34
	s_and_saveexec_b64 s[8:9], s[2:3]
	s_cbranch_execnz .LBB16_55
.LBB16_13:
	s_or_b64 exec, exec, s[8:9]
                                        ; implicit-def: $vgpr35
	s_and_saveexec_b64 s[2:3], s[4:5]
	s_cbranch_execnz .LBB16_56
.LBB16_14:
	s_or_b64 exec, exec, s[2:3]
                                        ; implicit-def: $vgpr36
	s_and_saveexec_b64 s[2:3], s[6:7]
	s_cbranch_execz .LBB16_16
.LBB16_15:
	global_load_ubyte v36, v[12:13], off offset:192
.LBB16_16:
	s_or_b64 exec, exec, s[2:3]
	v_mov_b32_e32 v17, v18
.LBB16_17:
	s_load_dwordx2 s[36:37], s[0:1], 0x28
	s_waitcnt vmcnt(0)
	v_xor_b32_e32 v12, 0x80000000, v4
	s_load_dword s0, s[0:1], 0x3c
	v_bfe_u32 v4, v0, 10, 10
	v_bfe_u32 v0, v0, 20, 10
	v_xor_b32_e32 v37, 0x80000000, v5
	s_mov_b32 s26, 0
	s_waitcnt lgkmcnt(0)
	s_lshr_b32 s1, s0, 16
	s_and_b32 s0, s0, 0xffff
	v_mad_u32_u24 v0, v0, s1, v4
	v_mad_u64_u32 v[4:5], s[0:1], v0, s0, v[6:7]
	v_and_b32_e32 v0, 15, v10
	v_cmp_eq_u32_e64 s[0:1], 0, v0
	v_cmp_lt_u32_e64 s[2:3], 1, v0
	v_cmp_lt_u32_e64 s[4:5], 3, v0
	v_cmp_lt_u32_e64 s[6:7], 7, v0
	v_and_b32_e32 v0, 16, v10
	v_cmp_eq_u32_e64 s[8:9], 0, v0
	v_and_b32_e32 v0, 0x3c0, v6
	v_min_u32_e32 v0, 0xc0, v0
	v_or_b32_e32 v0, 63, v0
	v_lshrrev_b32_e32 v15, 6, v4
	v_cmp_eq_u32_e64 s[12:13], v0, v6
	v_add_u32_e32 v0, -1, v10
	v_and_b32_e32 v4, 64, v10
	v_cmp_lt_i32_e32 vcc, v0, v4
	s_mov_b32 s27, s26
	s_mov_b32 s40, s26
	v_cndmask_b32_e32 v0, v0, v10, vcc
	v_lshlrev_b32_e32 v19, 2, v0
	v_lshrrev_b32_e32 v0, 4, v6
	v_and_b32_e32 v20, 60, v0
	v_and_b32_e32 v0, 3, v10
	s_mov_b32 s41, s26
	v_xor_b32_e32 v2, 0x80000000, v2
	v_xor_b32_e32 v3, 0x80000000, v3
	s_add_i32 s33, s37, s36
	v_lshlrev_b32_e32 v14, 2, v8
	v_cmp_lt_u32_e64 s[10:11], 31, v10
	v_cmp_gt_u32_e64 s[14:15], 4, v6
	v_cmp_lt_u32_e64 s[16:17], 63, v6
	v_cmp_eq_u32_e64 s[18:19], 0, v10
	v_cmp_eq_u32_e64 s[20:21], 0, v6
	v_mul_i32_i24_e32 v18, -12, v6
	v_cmp_eq_u32_e64 s[22:23], 0, v0
	v_cmp_lt_u32_e64 s[24:25], 1, v0
	v_add_u32_e32 v21, -4, v20
	v_lshlrev_b32_e32 v22, 2, v17
	v_lshlrev_b32_e32 v23, 2, v7
	;; [unrolled: 1-line block ×4, first 2 shown]
	v_mov_b64_e32 v[4:5], s[26:27]
	v_mov_b64_e32 v[10:11], s[40:41]
	v_mov_b32_e32 v13, 0
	s_branch .LBB16_19
.LBB16_18:                              ;   in Loop: Header=BB16_19 Depth=1
	s_barrier
	ds_write_b32 v41, v33
	ds_write_b32 v42, v32
	;; [unrolled: 1-line block ×4, first 2 shown]
	s_waitcnt lgkmcnt(0)
	s_barrier
	ds_read_b32 v2, v22
	ds_read_b32 v3, v23
	;; [unrolled: 1-line block ×4, first 2 shown]
	s_waitcnt lgkmcnt(0)
	s_barrier
	ds_write_b8 v0, v29
	ds_write_b8 v38, v28
	;; [unrolled: 1-line block ×4, first 2 shown]
	s_waitcnt lgkmcnt(0)
	s_barrier
	ds_read_u8 v1, v17
	ds_read_u8 v34, v7
	;; [unrolled: 1-line block ×4, first 2 shown]
	s_add_i32 s37, s37, -8
	s_waitcnt lgkmcnt(0)
	s_barrier
	s_cbranch_execz .LBB16_35
.LBB16_19:                              ; =>This Inner Loop Header: Depth=1
	s_min_u32 s26, s37, 8
	v_mov_b32_e32 v33, v2
	s_lshl_b32 s26, -1, s26
	s_not_b32 s40, s26
	v_lshrrev_b32_e32 v0, s36, v33
	v_and_b32_e32 v2, s40, v0
	v_mov_b32_e32 v31, v12
	v_lshl_add_u32 v0, v2, 2, v15
	v_and_b32_e32 v12, 1, v2
	v_mov_b32_e32 v29, v1
	v_mov_b32_e32 v28, v34
	v_lshl_add_u32 v34, v0, 2, 16
	v_lshl_add_u64 v[0:1], v[12:13], 0, -1
	v_cmp_ne_u32_e32 vcc, 0, v12
	v_mov_b32_e32 v32, v3
	v_mov_b32_e32 v27, v35
	v_xor_b32_e32 v1, vcc_hi, v1
	v_xor_b32_e32 v0, vcc_lo, v0
	v_and_b32_e32 v3, exec_hi, v1
	v_and_b32_e32 v12, exec_lo, v0
	v_lshlrev_b32_e32 v1, 30, v2
	v_mov_b32_e32 v0, v13
	v_cmp_gt_i64_e32 vcc, 0, v[0:1]
	v_not_b32_e32 v0, v1
	v_ashrrev_i32_e32 v0, 31, v0
	v_xor_b32_e32 v1, vcc_hi, v0
	v_xor_b32_e32 v0, vcc_lo, v0
	v_and_b32_e32 v3, v3, v1
	v_and_b32_e32 v12, v12, v0
	v_lshlrev_b32_e32 v1, 29, v2
	v_mov_b32_e32 v0, v13
	v_cmp_gt_i64_e32 vcc, 0, v[0:1]
	v_not_b32_e32 v0, v1
	v_ashrrev_i32_e32 v0, 31, v0
	v_xor_b32_e32 v1, vcc_hi, v0
	v_xor_b32_e32 v0, vcc_lo, v0
	v_and_b32_e32 v3, v3, v1
	v_and_b32_e32 v12, v12, v0
	;; [unrolled: 9-line block ×7, first 2 shown]
	v_mbcnt_lo_u32_b32 v2, v0, 0
	v_mbcnt_hi_u32_b32 v35, v1, v2
	v_cmp_eq_u32_e32 vcc, 0, v35
	v_cmp_ne_u64_e64 s[26:27], 0, v[0:1]
	v_mov_b32_e32 v30, v37
	v_mov_b32_e32 v26, v36
	s_and_b64 s[44:45], s[26:27], vcc
	ds_write2_b64 v14, v[4:5], v[10:11] offset0:2 offset1:3
	s_waitcnt lgkmcnt(0)
	s_barrier
	s_waitcnt lgkmcnt(0)
	; wave barrier
	s_and_saveexec_b64 s[26:27], s[44:45]
	s_cbranch_execz .LBB16_21
; %bb.20:                               ;   in Loop: Header=BB16_19 Depth=1
	v_bcnt_u32_b32 v0, v0, 0
	v_bcnt_u32_b32 v0, v1, v0
	ds_write_b32 v34, v0
.LBB16_21:                              ;   in Loop: Header=BB16_19 Depth=1
	s_or_b64 exec, exec, s[26:27]
	v_lshrrev_b32_e32 v0, s36, v32
	v_and_b32_e32 v2, s40, v0
	v_lshlrev_b32_e32 v0, 2, v2
	v_add_lshl_u32 v0, v0, v15, 2
	v_and_b32_e32 v12, 1, v2
	; wave barrier
	v_add_u32_e32 v37, 16, v0
	ds_read_b32 v36, v0 offset:16
	v_lshl_add_u64 v[0:1], v[12:13], 0, -1
	v_cmp_ne_u32_e32 vcc, 0, v12
	; wave barrier
	s_nop 1
	v_xor_b32_e32 v1, vcc_hi, v1
	v_xor_b32_e32 v0, vcc_lo, v0
	v_and_b32_e32 v3, exec_hi, v1
	v_and_b32_e32 v12, exec_lo, v0
	v_lshlrev_b32_e32 v1, 30, v2
	v_mov_b32_e32 v0, v13
	v_cmp_gt_i64_e32 vcc, 0, v[0:1]
	v_not_b32_e32 v0, v1
	v_ashrrev_i32_e32 v0, 31, v0
	v_xor_b32_e32 v1, vcc_hi, v0
	v_xor_b32_e32 v0, vcc_lo, v0
	v_and_b32_e32 v3, v3, v1
	v_and_b32_e32 v12, v12, v0
	v_lshlrev_b32_e32 v1, 29, v2
	v_mov_b32_e32 v0, v13
	v_cmp_gt_i64_e32 vcc, 0, v[0:1]
	v_not_b32_e32 v0, v1
	v_ashrrev_i32_e32 v0, 31, v0
	v_xor_b32_e32 v1, vcc_hi, v0
	v_xor_b32_e32 v0, vcc_lo, v0
	v_and_b32_e32 v3, v3, v1
	v_and_b32_e32 v12, v12, v0
	;; [unrolled: 9-line block ×7, first 2 shown]
	v_mbcnt_lo_u32_b32 v2, v0, 0
	v_mbcnt_hi_u32_b32 v38, v1, v2
	v_cmp_eq_u32_e32 vcc, 0, v38
	v_cmp_ne_u64_e64 s[26:27], 0, v[0:1]
	s_and_b64 s[44:45], s[26:27], vcc
	s_and_saveexec_b64 s[26:27], s[44:45]
	s_cbranch_execz .LBB16_23
; %bb.22:                               ;   in Loop: Header=BB16_19 Depth=1
	v_bcnt_u32_b32 v0, v0, 0
	v_bcnt_u32_b32 v0, v1, v0
	s_waitcnt lgkmcnt(0)
	v_add_u32_e32 v0, v36, v0
	ds_write_b32 v37, v0
.LBB16_23:                              ;   in Loop: Header=BB16_19 Depth=1
	s_or_b64 exec, exec, s[26:27]
	v_lshrrev_b32_e32 v0, s36, v31
	v_and_b32_e32 v2, s40, v0
	v_lshlrev_b32_e32 v0, 2, v2
	v_add_lshl_u32 v0, v0, v15, 2
	v_and_b32_e32 v12, 1, v2
	; wave barrier
	v_add_u32_e32 v40, 16, v0
	ds_read_b32 v39, v0 offset:16
	v_lshl_add_u64 v[0:1], v[12:13], 0, -1
	v_cmp_ne_u32_e32 vcc, 0, v12
	; wave barrier
	s_nop 1
	v_xor_b32_e32 v1, vcc_hi, v1
	v_xor_b32_e32 v0, vcc_lo, v0
	v_and_b32_e32 v3, exec_hi, v1
	v_and_b32_e32 v12, exec_lo, v0
	v_lshlrev_b32_e32 v1, 30, v2
	v_mov_b32_e32 v0, v13
	v_cmp_gt_i64_e32 vcc, 0, v[0:1]
	v_not_b32_e32 v0, v1
	v_ashrrev_i32_e32 v0, 31, v0
	v_xor_b32_e32 v1, vcc_hi, v0
	v_xor_b32_e32 v0, vcc_lo, v0
	v_and_b32_e32 v3, v3, v1
	v_and_b32_e32 v12, v12, v0
	v_lshlrev_b32_e32 v1, 29, v2
	v_mov_b32_e32 v0, v13
	v_cmp_gt_i64_e32 vcc, 0, v[0:1]
	v_not_b32_e32 v0, v1
	v_ashrrev_i32_e32 v0, 31, v0
	v_xor_b32_e32 v1, vcc_hi, v0
	v_xor_b32_e32 v0, vcc_lo, v0
	v_and_b32_e32 v3, v3, v1
	v_and_b32_e32 v12, v12, v0
	v_lshlrev_b32_e32 v1, 28, v2
	v_mov_b32_e32 v0, v13
	v_cmp_gt_i64_e32 vcc, 0, v[0:1]
	v_not_b32_e32 v0, v1
	v_ashrrev_i32_e32 v0, 31, v0
	v_xor_b32_e32 v1, vcc_hi, v0
	v_xor_b32_e32 v0, vcc_lo, v0
	v_and_b32_e32 v3, v3, v1
	v_and_b32_e32 v12, v12, v0
	v_lshlrev_b32_e32 v1, 27, v2
	v_mov_b32_e32 v0, v13
	v_cmp_gt_i64_e32 vcc, 0, v[0:1]
	v_not_b32_e32 v0, v1
	v_ashrrev_i32_e32 v0, 31, v0
	v_xor_b32_e32 v1, vcc_hi, v0
	v_xor_b32_e32 v0, vcc_lo, v0
	v_and_b32_e32 v3, v3, v1
	v_and_b32_e32 v12, v12, v0
	v_lshlrev_b32_e32 v1, 26, v2
	v_mov_b32_e32 v0, v13
	v_cmp_gt_i64_e32 vcc, 0, v[0:1]
	v_not_b32_e32 v0, v1
	v_ashrrev_i32_e32 v0, 31, v0
	v_xor_b32_e32 v1, vcc_hi, v0
	v_xor_b32_e32 v0, vcc_lo, v0
	v_and_b32_e32 v3, v3, v1
	v_and_b32_e32 v12, v12, v0
	v_lshlrev_b32_e32 v1, 25, v2
	v_mov_b32_e32 v0, v13
	v_cmp_gt_i64_e32 vcc, 0, v[0:1]
	v_not_b32_e32 v0, v1
	v_ashrrev_i32_e32 v0, 31, v0
	v_xor_b32_e32 v1, vcc_hi, v0
	v_xor_b32_e32 v0, vcc_lo, v0
	v_and_b32_e32 v3, v3, v1
	v_and_b32_e32 v12, v12, v0
	v_lshlrev_b32_e32 v1, 24, v2
	v_mov_b32_e32 v0, v13
	v_cmp_gt_i64_e32 vcc, 0, v[0:1]
	v_not_b32_e32 v0, v1
	v_ashrrev_i32_e32 v0, 31, v0
	v_xor_b32_e32 v1, vcc_hi, v0
	v_xor_b32_e32 v0, vcc_lo, v0
	v_and_b32_e32 v0, v12, v0
	v_and_b32_e32 v1, v3, v1
	v_mbcnt_lo_u32_b32 v2, v0, 0
	v_mbcnt_hi_u32_b32 v41, v1, v2
	v_cmp_eq_u32_e32 vcc, 0, v41
	v_cmp_ne_u64_e64 s[26:27], 0, v[0:1]
	s_and_b64 s[44:45], s[26:27], vcc
	s_and_saveexec_b64 s[26:27], s[44:45]
	s_cbranch_execz .LBB16_25
; %bb.24:                               ;   in Loop: Header=BB16_19 Depth=1
	v_bcnt_u32_b32 v0, v0, 0
	v_bcnt_u32_b32 v0, v1, v0
	s_waitcnt lgkmcnt(0)
	v_add_u32_e32 v0, v39, v0
	ds_write_b32 v40, v0
.LBB16_25:                              ;   in Loop: Header=BB16_19 Depth=1
	s_or_b64 exec, exec, s[26:27]
	v_lshrrev_b32_e32 v0, s36, v30
	v_and_b32_e32 v2, s40, v0
	v_lshlrev_b32_e32 v0, 2, v2
	v_add_lshl_u32 v0, v0, v15, 2
	v_and_b32_e32 v12, 1, v2
	; wave barrier
	v_add_u32_e32 v43, 16, v0
	ds_read_b32 v42, v0 offset:16
	v_lshl_add_u64 v[0:1], v[12:13], 0, -1
	v_cmp_ne_u32_e32 vcc, 0, v12
	; wave barrier
	s_nop 1
	v_xor_b32_e32 v1, vcc_hi, v1
	v_xor_b32_e32 v0, vcc_lo, v0
	v_and_b32_e32 v3, exec_hi, v1
	v_and_b32_e32 v12, exec_lo, v0
	v_lshlrev_b32_e32 v1, 30, v2
	v_mov_b32_e32 v0, v13
	v_cmp_gt_i64_e32 vcc, 0, v[0:1]
	v_not_b32_e32 v0, v1
	v_ashrrev_i32_e32 v0, 31, v0
	v_xor_b32_e32 v1, vcc_hi, v0
	v_xor_b32_e32 v0, vcc_lo, v0
	v_and_b32_e32 v3, v3, v1
	v_and_b32_e32 v12, v12, v0
	v_lshlrev_b32_e32 v1, 29, v2
	v_mov_b32_e32 v0, v13
	v_cmp_gt_i64_e32 vcc, 0, v[0:1]
	v_not_b32_e32 v0, v1
	v_ashrrev_i32_e32 v0, 31, v0
	v_xor_b32_e32 v1, vcc_hi, v0
	v_xor_b32_e32 v0, vcc_lo, v0
	v_and_b32_e32 v3, v3, v1
	v_and_b32_e32 v12, v12, v0
	;; [unrolled: 9-line block ×7, first 2 shown]
	v_mbcnt_lo_u32_b32 v2, v0, 0
	v_mbcnt_hi_u32_b32 v12, v1, v2
	v_cmp_eq_u32_e32 vcc, 0, v12
	v_cmp_ne_u64_e64 s[26:27], 0, v[0:1]
	s_and_b64 s[40:41], s[26:27], vcc
	s_and_saveexec_b64 s[26:27], s[40:41]
	s_cbranch_execz .LBB16_27
; %bb.26:                               ;   in Loop: Header=BB16_19 Depth=1
	v_bcnt_u32_b32 v0, v0, 0
	v_bcnt_u32_b32 v0, v1, v0
	s_waitcnt lgkmcnt(0)
	v_add_u32_e32 v0, v42, v0
	ds_write_b32 v43, v0
.LBB16_27:                              ;   in Loop: Header=BB16_19 Depth=1
	s_or_b64 exec, exec, s[26:27]
	; wave barrier
	s_waitcnt lgkmcnt(0)
	s_barrier
	ds_read2_b64 v[0:3], v14 offset0:2 offset1:3
	s_waitcnt lgkmcnt(0)
	v_add_u32_e32 v44, v1, v0
	v_add3_u32 v3, v44, v2, v3
	s_nop 1
	v_mov_b32_dpp v44, v3 row_shr:1 row_mask:0xf bank_mask:0xf
	v_cndmask_b32_e64 v44, v44, 0, s[0:1]
	v_add_u32_e32 v3, v44, v3
	s_nop 1
	v_mov_b32_dpp v44, v3 row_shr:2 row_mask:0xf bank_mask:0xf
	v_cndmask_b32_e64 v44, 0, v44, s[2:3]
	v_add_u32_e32 v3, v3, v44
	;; [unrolled: 4-line block ×4, first 2 shown]
	s_nop 1
	v_mov_b32_dpp v44, v3 row_bcast:15 row_mask:0xf bank_mask:0xf
	v_cndmask_b32_e64 v44, v44, 0, s[8:9]
	v_add_u32_e32 v3, v3, v44
	s_nop 1
	v_mov_b32_dpp v44, v3 row_bcast:31 row_mask:0xf bank_mask:0xf
	v_cndmask_b32_e64 v44, 0, v44, s[10:11]
	v_add_u32_e32 v3, v3, v44
	s_and_saveexec_b64 s[26:27], s[12:13]
	s_cbranch_execz .LBB16_29
; %bb.28:                               ;   in Loop: Header=BB16_19 Depth=1
	ds_write_b32 v20, v3
.LBB16_29:                              ;   in Loop: Header=BB16_19 Depth=1
	s_or_b64 exec, exec, s[26:27]
	s_waitcnt lgkmcnt(0)
	s_barrier
	s_and_saveexec_b64 s[26:27], s[14:15]
	s_cbranch_execz .LBB16_31
; %bb.30:                               ;   in Loop: Header=BB16_19 Depth=1
	v_add_u32_e32 v44, v14, v18
	ds_read_b32 v45, v44
	s_waitcnt lgkmcnt(0)
	s_nop 0
	v_mov_b32_dpp v46, v45 row_shr:1 row_mask:0xf bank_mask:0xf
	v_cndmask_b32_e64 v46, v46, 0, s[22:23]
	v_add_u32_e32 v45, v46, v45
	s_nop 1
	v_mov_b32_dpp v46, v45 row_shr:2 row_mask:0xf bank_mask:0xf
	v_cndmask_b32_e64 v46, 0, v46, s[24:25]
	v_add_u32_e32 v45, v45, v46
	ds_write_b32 v44, v45
.LBB16_31:                              ;   in Loop: Header=BB16_19 Depth=1
	s_or_b64 exec, exec, s[26:27]
	v_mov_b32_e32 v44, 0
	s_waitcnt lgkmcnt(0)
	s_barrier
	s_and_saveexec_b64 s[26:27], s[16:17]
	s_cbranch_execz .LBB16_33
; %bb.32:                               ;   in Loop: Header=BB16_19 Depth=1
	ds_read_b32 v44, v21
.LBB16_33:                              ;   in Loop: Header=BB16_19 Depth=1
	s_or_b64 exec, exec, s[26:27]
	s_waitcnt lgkmcnt(0)
	v_add_u32_e32 v3, v44, v3
	ds_bpermute_b32 v3, v19, v3
	s_add_i32 s36, s36, 8
	s_cmp_ge_u32 s36, s33
	s_waitcnt lgkmcnt(0)
	v_cndmask_b32_e64 v3, v3, v44, s[18:19]
	v_cndmask_b32_e64 v44, v3, 0, s[20:21]
	v_add_u32_e32 v45, v44, v0
	v_add_u32_e32 v0, v45, v1
	;; [unrolled: 1-line block ×3, first 2 shown]
	ds_write2_b64 v14, v[44:45], v[0:1] offset0:2 offset1:3
	s_waitcnt lgkmcnt(0)
	s_barrier
	ds_read_b32 v0, v34
	ds_read_b32 v1, v37
	;; [unrolled: 1-line block ×4, first 2 shown]
	s_waitcnt lgkmcnt(0)
	v_add_u32_e32 v0, v0, v35
	v_add3_u32 v38, v38, v36, v1
	v_add3_u32 v39, v41, v39, v2
	;; [unrolled: 1-line block ×3, first 2 shown]
	v_lshlrev_b32_e32 v41, 2, v0
	v_lshlrev_b32_e32 v42, 2, v38
	;; [unrolled: 1-line block ×4, first 2 shown]
	s_cbranch_scc0 .LBB16_18
; %bb.34:
                                        ; implicit-def: $vgpr37
                                        ; implicit-def: $vgpr12
                                        ; implicit-def: $vgpr3
                                        ; implicit-def: $vgpr2
                                        ; implicit-def: $sgpr36
                                        ; implicit-def: $vgpr1
                                        ; implicit-def: $vgpr34
                                        ; implicit-def: $vgpr35
                                        ; implicit-def: $vgpr36
.LBB16_35:
	v_add_u32_e32 v1, v14, v18
	s_barrier
	ds_write_b32 v41, v33
	ds_write_b32 v42, v32
	;; [unrolled: 1-line block ×4, first 2 shown]
	s_waitcnt lgkmcnt(0)
	s_barrier
	ds_read2st64_b32 v[10:11], v8 offset0:4 offset1:8
	ds_read_b32 v1, v1
	ds_read_b32 v7, v8 offset:3072
	s_waitcnt lgkmcnt(0)
	s_barrier
	ds_write_b8 v0, v29
	ds_write_b8 v38, v28
	;; [unrolled: 1-line block ×4, first 2 shown]
	s_waitcnt lgkmcnt(0)
	s_barrier
	ds_read_u8 v5, v6
	ds_read_u8 v4, v6 offset:256
	ds_read_u8 v3, v6 offset:512
	;; [unrolled: 1-line block ×3, first 2 shown]
	v_xor_b32_e32 v12, 0x80000000, v10
	v_xor_b32_e32 v10, 0x80000000, v7
	s_add_u32 s0, s38, s34
	v_mov_b32_e32 v7, 0
	s_addc_u32 s1, s39, s35
	v_mov_b32_e32 v9, v7
	v_xor_b32_e32 v13, 0x80000000, v1
	v_xor_b32_e32 v11, 0x80000000, v11
	s_andn2_b64 vcc, exec, s[30:31]
	v_lshl_add_u64 v[0:1], s[0:1], 0, v[8:9]
	s_cbranch_vccnz .LBB16_37
; %bb.36:
	s_add_u32 s0, s42, s28
	s_addc_u32 s1, s43, 0
	v_lshl_add_u64 v[8:9], s[0:1], 0, v[6:7]
	s_mov_b64 s[4:5], -1
	global_store_dword v[0:1], v13, off
	global_store_dword v[0:1], v12, off offset:1024
	global_store_dword v[0:1], v11, off offset:2048
	;; [unrolled: 1-line block ×3, first 2 shown]
	s_waitcnt lgkmcnt(3)
	global_store_byte v[8:9], v5, off
	s_waitcnt lgkmcnt(2)
	global_store_byte v[8:9], v4, off offset:256
	s_waitcnt lgkmcnt(1)
	global_store_byte v[8:9], v3, off offset:512
	s_cbranch_execz .LBB16_38
	s_branch .LBB16_51
.LBB16_37:
	s_mov_b64 s[4:5], 0
.LBB16_38:
	v_cmp_gt_u32_e32 vcc, s29, v6
	s_and_saveexec_b64 s[0:1], vcc
	s_cbranch_execz .LBB16_40
; %bb.39:
	global_store_dword v[0:1], v13, off
.LBB16_40:
	s_or_b64 exec, exec, s[0:1]
	v_add_u32_e32 v8, 0x100, v6
	v_cmp_gt_u32_e64 s[0:1], s29, v8
	s_and_saveexec_b64 s[2:3], s[0:1]
	s_cbranch_execz .LBB16_42
; %bb.41:
	global_store_dword v[0:1], v12, off offset:1024
.LBB16_42:
	s_or_b64 exec, exec, s[2:3]
	v_add_u32_e32 v8, 0x200, v6
	v_cmp_gt_u32_e64 s[2:3], s29, v8
	s_and_saveexec_b64 s[4:5], s[2:3]
	s_cbranch_execz .LBB16_44
; %bb.43:
	global_store_dword v[0:1], v11, off offset:2048
.LBB16_44:
	s_or_b64 exec, exec, s[4:5]
	v_add_u32_e32 v8, 0x300, v6
	v_cmp_gt_u32_e64 s[4:5], s29, v8
	s_and_saveexec_b64 s[6:7], s[4:5]
	s_cbranch_execz .LBB16_46
; %bb.45:
	global_store_dword v[0:1], v10, off offset:3072
.LBB16_46:
	s_or_b64 exec, exec, s[6:7]
	s_add_u32 s6, s42, s28
	s_addc_u32 s7, s43, 0
	v_lshl_add_u64 v[0:1], s[6:7], 0, v[6:7]
	s_and_saveexec_b64 s[6:7], vcc
	s_cbranch_execnz .LBB16_57
; %bb.47:
	s_or_b64 exec, exec, s[6:7]
	s_and_saveexec_b64 s[6:7], s[0:1]
	s_cbranch_execnz .LBB16_58
.LBB16_48:
	s_or_b64 exec, exec, s[6:7]
	s_and_saveexec_b64 s[0:1], s[2:3]
	s_cbranch_execz .LBB16_50
.LBB16_49:
	s_waitcnt lgkmcnt(1)
	global_store_byte v[0:1], v3, off offset:512
.LBB16_50:
	s_or_b64 exec, exec, s[0:1]
.LBB16_51:
	s_and_saveexec_b64 s[0:1], s[4:5]
	s_cbranch_execnz .LBB16_53
; %bb.52:
	s_endpgm
.LBB16_53:
	s_add_u32 s0, s42, s28
	s_addc_u32 s1, s43, 0
	v_lshl_add_u64 v[0:1], s[0:1], 0, v[6:7]
	s_waitcnt lgkmcnt(0)
	global_store_byte v[0:1], v2, off offset:768
	s_endpgm
.LBB16_54:
	global_load_ubyte v1, v[12:13], off
	s_or_b64 exec, exec, s[8:9]
                                        ; implicit-def: $vgpr34
	s_and_saveexec_b64 s[8:9], s[2:3]
	s_cbranch_execz .LBB16_13
.LBB16_55:
	global_load_ubyte v34, v[12:13], off offset:64
	s_or_b64 exec, exec, s[8:9]
                                        ; implicit-def: $vgpr35
	s_and_saveexec_b64 s[2:3], s[4:5]
	s_cbranch_execz .LBB16_14
.LBB16_56:
	global_load_ubyte v35, v[12:13], off offset:128
	s_or_b64 exec, exec, s[2:3]
                                        ; implicit-def: $vgpr36
	s_and_saveexec_b64 s[2:3], s[6:7]
	s_cbranch_execnz .LBB16_15
	s_branch .LBB16_16
.LBB16_57:
	s_waitcnt lgkmcnt(3)
	global_store_byte v[0:1], v5, off
	s_or_b64 exec, exec, s[6:7]
	s_and_saveexec_b64 s[6:7], s[0:1]
	s_cbranch_execz .LBB16_48
.LBB16_58:
	s_waitcnt lgkmcnt(2)
	global_store_byte v[0:1], v4, off offset:256
	s_or_b64 exec, exec, s[6:7]
	s_and_saveexec_b64 s[0:1], s[2:3]
	s_cbranch_execnz .LBB16_49
	s_branch .LBB16_50
	.section	.rodata,"a",@progbits
	.p2align	6, 0x0
	.amdhsa_kernel _ZN7rocprim17ROCPRIM_304000_NS6detail28radix_sort_block_sort_kernelINS1_36wrapped_radix_sort_block_sort_configINS0_13kernel_configILj256ELj4ELj4294967295EEEiN2at4cuda3cub6detail10OpaqueTypeILi1EEEEELb0EPKiPiPKSB_PSB_NS0_19identity_decomposerEEEvT1_T2_T3_T4_jT5_jj
		.amdhsa_group_segment_fixed_size 4112
		.amdhsa_private_segment_fixed_size 0
		.amdhsa_kernarg_size 304
		.amdhsa_user_sgpr_count 2
		.amdhsa_user_sgpr_dispatch_ptr 0
		.amdhsa_user_sgpr_queue_ptr 0
		.amdhsa_user_sgpr_kernarg_segment_ptr 1
		.amdhsa_user_sgpr_dispatch_id 0
		.amdhsa_user_sgpr_kernarg_preload_length 0
		.amdhsa_user_sgpr_kernarg_preload_offset 0
		.amdhsa_user_sgpr_private_segment_size 0
		.amdhsa_uses_dynamic_stack 0
		.amdhsa_enable_private_segment 0
		.amdhsa_system_sgpr_workgroup_id_x 1
		.amdhsa_system_sgpr_workgroup_id_y 0
		.amdhsa_system_sgpr_workgroup_id_z 0
		.amdhsa_system_sgpr_workgroup_info 0
		.amdhsa_system_vgpr_workitem_id 2
		.amdhsa_next_free_vgpr 47
		.amdhsa_next_free_sgpr 46
		.amdhsa_accum_offset 48
		.amdhsa_reserve_vcc 1
		.amdhsa_float_round_mode_32 0
		.amdhsa_float_round_mode_16_64 0
		.amdhsa_float_denorm_mode_32 3
		.amdhsa_float_denorm_mode_16_64 3
		.amdhsa_dx10_clamp 1
		.amdhsa_ieee_mode 1
		.amdhsa_fp16_overflow 0
		.amdhsa_tg_split 0
		.amdhsa_exception_fp_ieee_invalid_op 0
		.amdhsa_exception_fp_denorm_src 0
		.amdhsa_exception_fp_ieee_div_zero 0
		.amdhsa_exception_fp_ieee_overflow 0
		.amdhsa_exception_fp_ieee_underflow 0
		.amdhsa_exception_fp_ieee_inexact 0
		.amdhsa_exception_int_div_zero 0
	.end_amdhsa_kernel
	.section	.text._ZN7rocprim17ROCPRIM_304000_NS6detail28radix_sort_block_sort_kernelINS1_36wrapped_radix_sort_block_sort_configINS0_13kernel_configILj256ELj4ELj4294967295EEEiN2at4cuda3cub6detail10OpaqueTypeILi1EEEEELb0EPKiPiPKSB_PSB_NS0_19identity_decomposerEEEvT1_T2_T3_T4_jT5_jj,"axG",@progbits,_ZN7rocprim17ROCPRIM_304000_NS6detail28radix_sort_block_sort_kernelINS1_36wrapped_radix_sort_block_sort_configINS0_13kernel_configILj256ELj4ELj4294967295EEEiN2at4cuda3cub6detail10OpaqueTypeILi1EEEEELb0EPKiPiPKSB_PSB_NS0_19identity_decomposerEEEvT1_T2_T3_T4_jT5_jj,comdat
.Lfunc_end16:
	.size	_ZN7rocprim17ROCPRIM_304000_NS6detail28radix_sort_block_sort_kernelINS1_36wrapped_radix_sort_block_sort_configINS0_13kernel_configILj256ELj4ELj4294967295EEEiN2at4cuda3cub6detail10OpaqueTypeILi1EEEEELb0EPKiPiPKSB_PSB_NS0_19identity_decomposerEEEvT1_T2_T3_T4_jT5_jj, .Lfunc_end16-_ZN7rocprim17ROCPRIM_304000_NS6detail28radix_sort_block_sort_kernelINS1_36wrapped_radix_sort_block_sort_configINS0_13kernel_configILj256ELj4ELj4294967295EEEiN2at4cuda3cub6detail10OpaqueTypeILi1EEEEELb0EPKiPiPKSB_PSB_NS0_19identity_decomposerEEEvT1_T2_T3_T4_jT5_jj
                                        ; -- End function
	.section	.AMDGPU.csdata,"",@progbits
; Kernel info:
; codeLenInByte = 3800
; NumSgprs: 52
; NumVgprs: 47
; NumAgprs: 0
; TotalNumVgprs: 47
; ScratchSize: 0
; MemoryBound: 0
; FloatMode: 240
; IeeeMode: 1
; LDSByteSize: 4112 bytes/workgroup (compile time only)
; SGPRBlocks: 6
; VGPRBlocks: 5
; NumSGPRsForWavesPerEU: 52
; NumVGPRsForWavesPerEU: 47
; AccumOffset: 48
; Occupancy: 8
; WaveLimiterHint : 1
; COMPUTE_PGM_RSRC2:SCRATCH_EN: 0
; COMPUTE_PGM_RSRC2:USER_SGPR: 2
; COMPUTE_PGM_RSRC2:TRAP_HANDLER: 0
; COMPUTE_PGM_RSRC2:TGID_X_EN: 1
; COMPUTE_PGM_RSRC2:TGID_Y_EN: 0
; COMPUTE_PGM_RSRC2:TGID_Z_EN: 0
; COMPUTE_PGM_RSRC2:TIDIG_COMP_CNT: 2
; COMPUTE_PGM_RSRC3_GFX90A:ACCUM_OFFSET: 11
; COMPUTE_PGM_RSRC3_GFX90A:TG_SPLIT: 0
	.section	.text._ZN7rocprim17ROCPRIM_304000_NS6detail45device_block_merge_mergepath_partition_kernelINS1_37wrapped_merge_sort_block_merge_configINS0_14default_configEiN2at4cuda3cub6detail10OpaqueTypeILi1EEEEEPijNS1_19radix_merge_compareILb0ELb0EiNS0_19identity_decomposerEEEEEvT0_T1_jPSH_T2_SH_,"axG",@progbits,_ZN7rocprim17ROCPRIM_304000_NS6detail45device_block_merge_mergepath_partition_kernelINS1_37wrapped_merge_sort_block_merge_configINS0_14default_configEiN2at4cuda3cub6detail10OpaqueTypeILi1EEEEEPijNS1_19radix_merge_compareILb0ELb0EiNS0_19identity_decomposerEEEEEvT0_T1_jPSH_T2_SH_,comdat
	.protected	_ZN7rocprim17ROCPRIM_304000_NS6detail45device_block_merge_mergepath_partition_kernelINS1_37wrapped_merge_sort_block_merge_configINS0_14default_configEiN2at4cuda3cub6detail10OpaqueTypeILi1EEEEEPijNS1_19radix_merge_compareILb0ELb0EiNS0_19identity_decomposerEEEEEvT0_T1_jPSH_T2_SH_ ; -- Begin function _ZN7rocprim17ROCPRIM_304000_NS6detail45device_block_merge_mergepath_partition_kernelINS1_37wrapped_merge_sort_block_merge_configINS0_14default_configEiN2at4cuda3cub6detail10OpaqueTypeILi1EEEEEPijNS1_19radix_merge_compareILb0ELb0EiNS0_19identity_decomposerEEEEEvT0_T1_jPSH_T2_SH_
	.globl	_ZN7rocprim17ROCPRIM_304000_NS6detail45device_block_merge_mergepath_partition_kernelINS1_37wrapped_merge_sort_block_merge_configINS0_14default_configEiN2at4cuda3cub6detail10OpaqueTypeILi1EEEEEPijNS1_19radix_merge_compareILb0ELb0EiNS0_19identity_decomposerEEEEEvT0_T1_jPSH_T2_SH_
	.p2align	8
	.type	_ZN7rocprim17ROCPRIM_304000_NS6detail45device_block_merge_mergepath_partition_kernelINS1_37wrapped_merge_sort_block_merge_configINS0_14default_configEiN2at4cuda3cub6detail10OpaqueTypeILi1EEEEEPijNS1_19radix_merge_compareILb0ELb0EiNS0_19identity_decomposerEEEEEvT0_T1_jPSH_T2_SH_,@function
_ZN7rocprim17ROCPRIM_304000_NS6detail45device_block_merge_mergepath_partition_kernelINS1_37wrapped_merge_sort_block_merge_configINS0_14default_configEiN2at4cuda3cub6detail10OpaqueTypeILi1EEEEEPijNS1_19radix_merge_compareILb0ELb0EiNS0_19identity_decomposerEEEEEvT0_T1_jPSH_T2_SH_: ; @_ZN7rocprim17ROCPRIM_304000_NS6detail45device_block_merge_mergepath_partition_kernelINS1_37wrapped_merge_sort_block_merge_configINS0_14default_configEiN2at4cuda3cub6detail10OpaqueTypeILi1EEEEEPijNS1_19radix_merge_compareILb0ELb0EiNS0_19identity_decomposerEEEEEvT0_T1_jPSH_T2_SH_
; %bb.0:
	s_load_dwordx2 s[4:5], s[0:1], 0x8
	v_lshl_or_b32 v0, s2, 7, v0
	s_waitcnt lgkmcnt(0)
	v_cmp_gt_u32_e32 vcc, s5, v0
	s_and_saveexec_b64 s[2:3], vcc
	s_cbranch_execz .LBB17_6
; %bb.1:
	s_load_dword s2, s[0:1], 0x1c
	s_waitcnt lgkmcnt(0)
	s_lshr_b32 s3, s2, 9
	s_and_b32 s3, s3, 0x7ffffe
	s_add_i32 s5, s3, -1
	s_sub_i32 s3, 0, s3
	v_and_b32_e32 v1, s3, v0
	v_and_b32_e32 v2, s5, v0
	v_lshlrev_b32_e32 v1, 10, v1
	v_lshlrev_b32_e32 v3, 10, v2
	v_min_u32_e32 v2, s4, v1
	v_add_u32_e32 v1, s2, v1
	v_min_u32_e32 v4, s4, v1
	v_add_u32_e32 v1, s2, v4
	v_min_u32_e32 v1, s4, v1
	v_sub_u32_e32 v5, v1, v2
	v_min_u32_e32 v10, v5, v3
	v_sub_u32_e32 v3, v4, v2
	v_sub_u32_e32 v1, v1, v4
	v_sub_u32_e64 v1, v10, v1 clamp
	v_min_u32_e32 v11, v10, v3
	v_cmp_lt_u32_e32 vcc, v1, v11
	s_and_saveexec_b64 s[2:3], vcc
	s_cbranch_execz .LBB17_5
; %bb.2:
	s_load_dwordx2 s[4:5], s[0:1], 0x0
	v_mov_b32_e32 v5, 0
	v_mov_b32_e32 v3, v5
	s_waitcnt lgkmcnt(0)
	v_lshl_add_u64 v[6:7], v[2:3], 2, s[4:5]
	v_lshl_add_u64 v[8:9], v[4:5], 2, s[4:5]
	s_mov_b64 s[4:5], 0
.LBB17_3:                               ; =>This Inner Loop Header: Depth=1
	v_add_u32_e32 v3, v11, v1
	v_lshrrev_b32_e32 v4, 1, v3
	v_mov_b32_e32 v13, v5
	v_xad_u32 v12, v4, -1, v10
	v_lshl_add_u64 v[14:15], v[4:5], 2, v[6:7]
	v_lshl_add_u64 v[12:13], v[12:13], 2, v[8:9]
	global_load_dword v3, v[14:15], off
	global_load_dword v16, v[12:13], off
	v_add_u32_e32 v12, 1, v4
	s_waitcnt vmcnt(0)
	v_cmp_gt_i32_e32 vcc, v3, v16
	s_nop 1
	v_cndmask_b32_e32 v11, v11, v4, vcc
	v_cndmask_b32_e32 v1, v12, v1, vcc
	v_cmp_ge_u32_e32 vcc, v1, v11
	s_or_b64 s[4:5], vcc, s[4:5]
	s_andn2_b64 exec, exec, s[4:5]
	s_cbranch_execnz .LBB17_3
; %bb.4:
	s_or_b64 exec, exec, s[4:5]
.LBB17_5:
	s_or_b64 exec, exec, s[2:3]
	s_load_dwordx2 s[0:1], s[0:1], 0x10
	v_add_u32_e32 v2, v1, v2
	v_mov_b32_e32 v1, 0
	s_waitcnt lgkmcnt(0)
	v_lshl_add_u64 v[0:1], v[0:1], 2, s[0:1]
	global_store_dword v[0:1], v2, off
.LBB17_6:
	s_endpgm
	.section	.rodata,"a",@progbits
	.p2align	6, 0x0
	.amdhsa_kernel _ZN7rocprim17ROCPRIM_304000_NS6detail45device_block_merge_mergepath_partition_kernelINS1_37wrapped_merge_sort_block_merge_configINS0_14default_configEiN2at4cuda3cub6detail10OpaqueTypeILi1EEEEEPijNS1_19radix_merge_compareILb0ELb0EiNS0_19identity_decomposerEEEEEvT0_T1_jPSH_T2_SH_
		.amdhsa_group_segment_fixed_size 0
		.amdhsa_private_segment_fixed_size 0
		.amdhsa_kernarg_size 32
		.amdhsa_user_sgpr_count 2
		.amdhsa_user_sgpr_dispatch_ptr 0
		.amdhsa_user_sgpr_queue_ptr 0
		.amdhsa_user_sgpr_kernarg_segment_ptr 1
		.amdhsa_user_sgpr_dispatch_id 0
		.amdhsa_user_sgpr_kernarg_preload_length 0
		.amdhsa_user_sgpr_kernarg_preload_offset 0
		.amdhsa_user_sgpr_private_segment_size 0
		.amdhsa_uses_dynamic_stack 0
		.amdhsa_enable_private_segment 0
		.amdhsa_system_sgpr_workgroup_id_x 1
		.amdhsa_system_sgpr_workgroup_id_y 0
		.amdhsa_system_sgpr_workgroup_id_z 0
		.amdhsa_system_sgpr_workgroup_info 0
		.amdhsa_system_vgpr_workitem_id 0
		.amdhsa_next_free_vgpr 17
		.amdhsa_next_free_sgpr 6
		.amdhsa_accum_offset 20
		.amdhsa_reserve_vcc 1
		.amdhsa_float_round_mode_32 0
		.amdhsa_float_round_mode_16_64 0
		.amdhsa_float_denorm_mode_32 3
		.amdhsa_float_denorm_mode_16_64 3
		.amdhsa_dx10_clamp 1
		.amdhsa_ieee_mode 1
		.amdhsa_fp16_overflow 0
		.amdhsa_tg_split 0
		.amdhsa_exception_fp_ieee_invalid_op 0
		.amdhsa_exception_fp_denorm_src 0
		.amdhsa_exception_fp_ieee_div_zero 0
		.amdhsa_exception_fp_ieee_overflow 0
		.amdhsa_exception_fp_ieee_underflow 0
		.amdhsa_exception_fp_ieee_inexact 0
		.amdhsa_exception_int_div_zero 0
	.end_amdhsa_kernel
	.section	.text._ZN7rocprim17ROCPRIM_304000_NS6detail45device_block_merge_mergepath_partition_kernelINS1_37wrapped_merge_sort_block_merge_configINS0_14default_configEiN2at4cuda3cub6detail10OpaqueTypeILi1EEEEEPijNS1_19radix_merge_compareILb0ELb0EiNS0_19identity_decomposerEEEEEvT0_T1_jPSH_T2_SH_,"axG",@progbits,_ZN7rocprim17ROCPRIM_304000_NS6detail45device_block_merge_mergepath_partition_kernelINS1_37wrapped_merge_sort_block_merge_configINS0_14default_configEiN2at4cuda3cub6detail10OpaqueTypeILi1EEEEEPijNS1_19radix_merge_compareILb0ELb0EiNS0_19identity_decomposerEEEEEvT0_T1_jPSH_T2_SH_,comdat
.Lfunc_end17:
	.size	_ZN7rocprim17ROCPRIM_304000_NS6detail45device_block_merge_mergepath_partition_kernelINS1_37wrapped_merge_sort_block_merge_configINS0_14default_configEiN2at4cuda3cub6detail10OpaqueTypeILi1EEEEEPijNS1_19radix_merge_compareILb0ELb0EiNS0_19identity_decomposerEEEEEvT0_T1_jPSH_T2_SH_, .Lfunc_end17-_ZN7rocprim17ROCPRIM_304000_NS6detail45device_block_merge_mergepath_partition_kernelINS1_37wrapped_merge_sort_block_merge_configINS0_14default_configEiN2at4cuda3cub6detail10OpaqueTypeILi1EEEEEPijNS1_19radix_merge_compareILb0ELb0EiNS0_19identity_decomposerEEEEEvT0_T1_jPSH_T2_SH_
                                        ; -- End function
	.section	.AMDGPU.csdata,"",@progbits
; Kernel info:
; codeLenInByte = 320
; NumSgprs: 12
; NumVgprs: 17
; NumAgprs: 0
; TotalNumVgprs: 17
; ScratchSize: 0
; MemoryBound: 0
; FloatMode: 240
; IeeeMode: 1
; LDSByteSize: 0 bytes/workgroup (compile time only)
; SGPRBlocks: 1
; VGPRBlocks: 2
; NumSGPRsForWavesPerEU: 12
; NumVGPRsForWavesPerEU: 17
; AccumOffset: 20
; Occupancy: 8
; WaveLimiterHint : 0
; COMPUTE_PGM_RSRC2:SCRATCH_EN: 0
; COMPUTE_PGM_RSRC2:USER_SGPR: 2
; COMPUTE_PGM_RSRC2:TRAP_HANDLER: 0
; COMPUTE_PGM_RSRC2:TGID_X_EN: 1
; COMPUTE_PGM_RSRC2:TGID_Y_EN: 0
; COMPUTE_PGM_RSRC2:TGID_Z_EN: 0
; COMPUTE_PGM_RSRC2:TIDIG_COMP_CNT: 0
; COMPUTE_PGM_RSRC3_GFX90A:ACCUM_OFFSET: 4
; COMPUTE_PGM_RSRC3_GFX90A:TG_SPLIT: 0
	.section	.text._ZN7rocprim17ROCPRIM_304000_NS6detail35device_block_merge_mergepath_kernelINS1_37wrapped_merge_sort_block_merge_configINS0_14default_configEiN2at4cuda3cub6detail10OpaqueTypeILi1EEEEEPiSC_PSA_SD_jNS1_19radix_merge_compareILb0ELb0EiNS0_19identity_decomposerEEEEEvT0_T1_T2_T3_T4_SL_jT5_PKSL_NS1_7vsmem_tE,"axG",@progbits,_ZN7rocprim17ROCPRIM_304000_NS6detail35device_block_merge_mergepath_kernelINS1_37wrapped_merge_sort_block_merge_configINS0_14default_configEiN2at4cuda3cub6detail10OpaqueTypeILi1EEEEEPiSC_PSA_SD_jNS1_19radix_merge_compareILb0ELb0EiNS0_19identity_decomposerEEEEEvT0_T1_T2_T3_T4_SL_jT5_PKSL_NS1_7vsmem_tE,comdat
	.protected	_ZN7rocprim17ROCPRIM_304000_NS6detail35device_block_merge_mergepath_kernelINS1_37wrapped_merge_sort_block_merge_configINS0_14default_configEiN2at4cuda3cub6detail10OpaqueTypeILi1EEEEEPiSC_PSA_SD_jNS1_19radix_merge_compareILb0ELb0EiNS0_19identity_decomposerEEEEEvT0_T1_T2_T3_T4_SL_jT5_PKSL_NS1_7vsmem_tE ; -- Begin function _ZN7rocprim17ROCPRIM_304000_NS6detail35device_block_merge_mergepath_kernelINS1_37wrapped_merge_sort_block_merge_configINS0_14default_configEiN2at4cuda3cub6detail10OpaqueTypeILi1EEEEEPiSC_PSA_SD_jNS1_19radix_merge_compareILb0ELb0EiNS0_19identity_decomposerEEEEEvT0_T1_T2_T3_T4_SL_jT5_PKSL_NS1_7vsmem_tE
	.globl	_ZN7rocprim17ROCPRIM_304000_NS6detail35device_block_merge_mergepath_kernelINS1_37wrapped_merge_sort_block_merge_configINS0_14default_configEiN2at4cuda3cub6detail10OpaqueTypeILi1EEEEEPiSC_PSA_SD_jNS1_19radix_merge_compareILb0ELb0EiNS0_19identity_decomposerEEEEEvT0_T1_T2_T3_T4_SL_jT5_PKSL_NS1_7vsmem_tE
	.p2align	8
	.type	_ZN7rocprim17ROCPRIM_304000_NS6detail35device_block_merge_mergepath_kernelINS1_37wrapped_merge_sort_block_merge_configINS0_14default_configEiN2at4cuda3cub6detail10OpaqueTypeILi1EEEEEPiSC_PSA_SD_jNS1_19radix_merge_compareILb0ELb0EiNS0_19identity_decomposerEEEEEvT0_T1_T2_T3_T4_SL_jT5_PKSL_NS1_7vsmem_tE,@function
_ZN7rocprim17ROCPRIM_304000_NS6detail35device_block_merge_mergepath_kernelINS1_37wrapped_merge_sort_block_merge_configINS0_14default_configEiN2at4cuda3cub6detail10OpaqueTypeILi1EEEEEPiSC_PSA_SD_jNS1_19radix_merge_compareILb0ELb0EiNS0_19identity_decomposerEEEEEvT0_T1_T2_T3_T4_SL_jT5_PKSL_NS1_7vsmem_tE: ; @_ZN7rocprim17ROCPRIM_304000_NS6detail35device_block_merge_mergepath_kernelINS1_37wrapped_merge_sort_block_merge_configINS0_14default_configEiN2at4cuda3cub6detail10OpaqueTypeILi1EEEEEPiSC_PSA_SD_jNS1_19radix_merge_compareILb0ELb0EiNS0_19identity_decomposerEEEEEvT0_T1_T2_T3_T4_SL_jT5_PKSL_NS1_7vsmem_tE
; %bb.0:
	s_load_dwordx2 s[10:11], s[0:1], 0x40
	s_load_dwordx4 s[20:23], s[0:1], 0x20
	s_add_u32 s8, s0, 64
	s_addc_u32 s9, s1, 0
	s_waitcnt lgkmcnt(0)
	s_mul_i32 s4, s11, s4
	s_add_i32 s3, s4, s3
	s_mul_i32 s3, s3, s10
	s_add_i32 s6, s3, s2
	s_cmp_ge_u32 s6, s22
	s_cbranch_scc1 .LBB18_105
; %bb.1:
	s_load_dwordx8 s[12:19], s[0:1], 0x0
	s_load_dwordx2 s[4:5], s[0:1], 0x30
	s_lshr_b32 s11, s20, 10
	s_cmp_lg_u32 s6, s11
	s_mov_b32 s7, 0
	s_cselect_b64 s[24:25], -1, 0
	s_lshl_b64 s[0:1], s[6:7], 2
	s_waitcnt lgkmcnt(0)
	s_add_u32 s0, s4, s0
	s_addc_u32 s1, s5, s1
	s_load_dwordx2 s[26:27], s[0:1], 0x0
	s_lshr_b32 s0, s21, 9
	s_and_b32 s0, s0, 0x7ffffe
	s_sub_i32 s0, 0, s0
	s_and_b32 s1, s6, s0
	s_lshl_b32 s3, s1, 10
	s_lshl_b32 s22, s6, 10
	;; [unrolled: 1-line block ×3, first 2 shown]
	s_sub_i32 s4, s22, s3
	s_add_i32 s1, s1, s21
	s_add_i32 s4, s1, s4
	s_waitcnt lgkmcnt(0)
	s_sub_i32 s5, s4, s26
	s_sub_i32 s4, s4, s27
	;; [unrolled: 1-line block ×3, first 2 shown]
	s_min_u32 s28, s20, s5
	s_addk_i32 s4, 0x400
	s_or_b32 s0, s6, s0
	s_min_u32 s3, s20, s1
	s_add_i32 s1, s1, s21
	s_cmp_eq_u32 s0, -1
	s_cselect_b32 s0, s1, s4
	s_cselect_b32 s1, s3, s27
	s_min_u32 s0, s0, s20
	s_mov_b32 s27, s7
	s_sub_i32 s23, s1, s26
	s_sub_i32 s33, s0, s28
	s_lshl_b64 s[0:1], s[26:27], 2
	s_add_u32 s0, s12, s0
	s_mov_b32 s29, s7
	s_addc_u32 s1, s13, s1
	s_lshl_b64 s[4:5], s[28:29], 2
	s_add_u32 s4, s12, s4
	s_addc_u32 s5, s13, s5
	s_cmp_lt_u32 s2, s10
	v_mov_b32_e32 v11, 0
	s_cselect_b32 s2, 12, 18
	global_load_dword v1, v11, s[8:9] offset:14
	s_add_u32 s2, s8, s2
	s_addc_u32 s3, s9, 0
	global_load_ushort v2, v11, s[2:3]
	v_cmp_gt_u32_e32 vcc, s23, v0
	s_cmp_eq_u32 s6, s11
	v_lshlrev_b32_e32 v10, 2, v0
	s_waitcnt vmcnt(1)
	v_lshrrev_b32_e32 v3, 16, v1
	v_and_b32_e32 v1, 0xffff, v1
	v_mul_lo_u32 v1, v1, v3
	s_waitcnt vmcnt(0)
	v_mul_lo_u32 v1, v1, v2
	v_add_u32_e32 v14, v1, v0
	v_add_u32_e32 v12, v14, v1
	s_cbranch_scc1 .LBB18_3
; %bb.2:
	v_subrev_u32_e32 v4, s23, v0
	v_mov_b32_e32 v5, v11
	v_lshl_add_u64 v[2:3], s[0:1], 0, v[10:11]
	v_lshl_add_u64 v[4:5], v[4:5], 2, s[4:5]
	v_mov_b32_e32 v15, v11
	v_subrev_u32_e32 v6, s23, v14
	v_mov_b32_e32 v7, v11
	v_cndmask_b32_e32 v3, v5, v3, vcc
	v_cndmask_b32_e32 v2, v4, v2, vcc
	v_lshl_add_u64 v[4:5], v[14:15], 2, s[0:1]
	v_lshl_add_u64 v[6:7], v[6:7], 2, s[4:5]
	v_cmp_gt_u32_e32 vcc, s23, v14
	v_mov_b32_e32 v13, v11
	global_load_dword v2, v[2:3], off
	v_cndmask_b32_e32 v5, v7, v5, vcc
	v_cndmask_b32_e32 v4, v6, v4, vcc
	v_subrev_u32_e32 v6, s23, v12
	v_mov_b32_e32 v7, v11
	global_load_dword v3, v[4:5], off
	v_lshl_add_u64 v[4:5], v[12:13], 2, s[0:1]
	v_lshl_add_u64 v[6:7], v[6:7], 2, s[4:5]
	v_cmp_gt_u32_e32 vcc, s23, v12
	v_mov_b32_e32 v17, v11
	v_mov_b32_e32 v19, v11
	v_cndmask_b32_e32 v4, v6, v4, vcc
	v_add_u32_e32 v6, v12, v1
	v_cndmask_b32_e32 v5, v7, v5, vcc
	v_mov_b32_e32 v7, v11
	v_subrev_u32_e32 v16, s23, v6
	v_lshl_add_u64 v[8:9], v[6:7], 2, s[0:1]
	v_lshl_add_u64 v[16:17], v[16:17], 2, s[4:5]
	v_cmp_gt_u32_e32 vcc, s23, v6
	global_load_dword v4, v[4:5], off
	v_mov_b32_e32 v21, v11
	v_cndmask_b32_e32 v9, v17, v9, vcc
	v_cndmask_b32_e32 v8, v16, v8, vcc
	global_load_dword v5, v[8:9], off
	v_add_u32_e32 v8, v6, v1
	v_mov_b32_e32 v9, v11
	v_lshl_add_u64 v[6:7], v[8:9], 2, s[0:1]
	v_subrev_u32_e32 v16, s23, v8
	v_mov_b32_e32 v17, v11
	v_cmp_gt_u32_e32 vcc, s23, v8
	v_add_u32_e32 v8, v8, v1
	v_lshl_add_u64 v[16:17], v[16:17], 2, s[4:5]
	v_subrev_u32_e32 v18, s23, v8
	v_cndmask_b32_e32 v7, v17, v7, vcc
	v_cndmask_b32_e32 v6, v16, v6, vcc
	v_lshl_add_u64 v[16:17], v[8:9], 2, s[0:1]
	v_lshl_add_u64 v[18:19], v[18:19], 2, s[4:5]
	v_cmp_gt_u32_e32 vcc, s23, v8
	global_load_dword v6, v[6:7], off
	s_add_i32 s21, s33, s23
	v_cndmask_b32_e32 v17, v19, v17, vcc
	v_cndmask_b32_e32 v16, v18, v16, vcc
	global_load_dword v7, v[16:17], off
	v_add_u32_e32 v16, v8, v1
	v_mov_b32_e32 v17, v11
	v_lshl_add_u64 v[8:9], v[16:17], 2, s[0:1]
	v_subrev_u32_e32 v18, s23, v16
	v_mov_b32_e32 v19, v11
	v_cmp_gt_u32_e32 vcc, s23, v16
	v_add_u32_e32 v16, v16, v1
	v_lshl_add_u64 v[18:19], v[18:19], 2, s[4:5]
	v_subrev_u32_e32 v20, s23, v16
	v_cndmask_b32_e32 v9, v19, v9, vcc
	v_cndmask_b32_e32 v8, v18, v8, vcc
	v_lshl_add_u64 v[18:19], v[16:17], 2, s[0:1]
	v_lshl_add_u64 v[20:21], v[20:21], 2, s[4:5]
	v_cmp_gt_u32_e32 vcc, s23, v16
	global_load_dword v8, v[8:9], off
	s_nop 0
	v_cndmask_b32_e32 v17, v21, v19, vcc
	v_cndmask_b32_e32 v16, v20, v18, vcc
	global_load_dword v9, v[16:17], off
	s_cbranch_execz .LBB18_4
	s_branch .LBB18_19
.LBB18_3:
                                        ; implicit-def: $vgpr2_vgpr3_vgpr4_vgpr5_vgpr6_vgpr7_vgpr8_vgpr9
                                        ; implicit-def: $sgpr21
.LBB18_4:
	s_add_i32 s21, s33, s23
	v_cmp_gt_u32_e32 vcc, s21, v0
                                        ; implicit-def: $vgpr2_vgpr3_vgpr4_vgpr5_vgpr6_vgpr7_vgpr8_vgpr9
	s_and_saveexec_b64 s[2:3], vcc
	s_cbranch_execnz .LBB18_106
; %bb.5:
	s_or_b64 exec, exec, s[2:3]
	v_cmp_gt_u32_e32 vcc, s21, v14
	s_and_saveexec_b64 s[2:3], vcc
	s_cbranch_execnz .LBB18_107
.LBB18_6:
	s_or_b64 exec, exec, s[2:3]
	v_cmp_gt_u32_e32 vcc, s21, v12
	s_and_saveexec_b64 s[2:3], vcc
	s_cbranch_execz .LBB18_8
.LBB18_7:
	v_mov_b32_e32 v13, 0
	v_subrev_u32_e32 v16, s23, v12
	v_mov_b32_e32 v17, v13
	v_lshl_add_u64 v[14:15], v[12:13], 2, s[0:1]
	v_lshl_add_u64 v[16:17], v[16:17], 2, s[4:5]
	v_cmp_gt_u32_e32 vcc, s23, v12
	s_nop 1
	v_cndmask_b32_e32 v15, v17, v15, vcc
	v_cndmask_b32_e32 v14, v16, v14, vcc
	global_load_dword v4, v[14:15], off
.LBB18_8:
	s_or_b64 exec, exec, s[2:3]
	v_add_u32_e32 v12, v12, v1
	v_cmp_gt_u32_e32 vcc, s21, v12
	s_and_saveexec_b64 s[2:3], vcc
	s_cbranch_execz .LBB18_10
; %bb.9:
	v_mov_b32_e32 v13, 0
	v_subrev_u32_e32 v16, s23, v12
	v_mov_b32_e32 v17, v13
	v_lshl_add_u64 v[14:15], v[12:13], 2, s[0:1]
	v_lshl_add_u64 v[16:17], v[16:17], 2, s[4:5]
	v_cmp_gt_u32_e32 vcc, s23, v12
	s_nop 1
	v_cndmask_b32_e32 v15, v17, v15, vcc
	v_cndmask_b32_e32 v14, v16, v14, vcc
	global_load_dword v5, v[14:15], off
.LBB18_10:
	s_or_b64 exec, exec, s[2:3]
	v_add_u32_e32 v12, v12, v1
	v_cmp_gt_u32_e32 vcc, s21, v12
	s_and_saveexec_b64 s[2:3], vcc
	s_cbranch_execz .LBB18_12
; %bb.11:
	v_mov_b32_e32 v13, 0
	v_subrev_u32_e32 v16, s23, v12
	v_mov_b32_e32 v17, v13
	v_lshl_add_u64 v[14:15], v[12:13], 2, s[0:1]
	v_lshl_add_u64 v[16:17], v[16:17], 2, s[4:5]
	v_cmp_gt_u32_e32 vcc, s23, v12
	s_nop 1
	v_cndmask_b32_e32 v15, v17, v15, vcc
	v_cndmask_b32_e32 v14, v16, v14, vcc
	global_load_dword v6, v[14:15], off
.LBB18_12:
	;; [unrolled: 17-line block ×4, first 2 shown]
	s_or_b64 exec, exec, s[2:3]
	v_add_u32_e32 v12, v12, v1
	v_cmp_gt_u32_e32 vcc, s21, v12
	s_and_saveexec_b64 s[2:3], vcc
	s_cbranch_execz .LBB18_18
; %bb.17:
	v_mov_b32_e32 v13, 0
	v_lshl_add_u64 v[14:15], v[12:13], 2, s[0:1]
	v_cmp_gt_u32_e32 vcc, s23, v12
	v_subrev_u32_e32 v12, s23, v12
	v_lshl_add_u64 v[12:13], v[12:13], 2, s[4:5]
	v_cndmask_b32_e32 v13, v13, v15, vcc
	v_cndmask_b32_e32 v12, v12, v14, vcc
	global_load_dword v9, v[12:13], off
.LBB18_18:
	s_or_b64 exec, exec, s[2:3]
.LBB18_19:
	v_lshlrev_b32_e32 v11, 3, v0
	v_min_u32_e32 v1, s21, v11
	v_sub_u32_e64 v12, v1, s33 clamp
	v_min_u32_e32 v13, s23, v1
	v_cmp_lt_u32_e32 vcc, v12, v13
	s_waitcnt vmcnt(0)
	ds_write2st64_b32 v10, v2, v3 offset1:2
	ds_write2st64_b32 v10, v4, v5 offset0:4 offset1:6
	ds_write2st64_b32 v10, v6, v7 offset0:8 offset1:10
	;; [unrolled: 1-line block ×3, first 2 shown]
	s_waitcnt lgkmcnt(0)
	s_barrier
	s_and_saveexec_b64 s[0:1], vcc
	s_cbranch_execz .LBB18_23
; %bb.20:
	v_lshlrev_b32_e32 v14, 2, v1
	v_lshl_add_u32 v14, s23, 2, v14
	s_mov_b64 s[2:3], 0
.LBB18_21:                              ; =>This Inner Loop Header: Depth=1
	v_add_u32_e32 v15, v13, v12
	v_lshrrev_b32_e32 v15, 1, v15
	v_not_b32_e32 v16, v15
	v_lshlrev_b32_e32 v17, 2, v15
	v_lshl_add_u32 v16, v16, 2, v14
	ds_read_b32 v17, v17
	ds_read_b32 v16, v16
	v_add_u32_e32 v18, 1, v15
	s_waitcnt lgkmcnt(0)
	v_cmp_gt_i32_e32 vcc, v17, v16
	s_nop 1
	v_cndmask_b32_e32 v13, v13, v15, vcc
	v_cndmask_b32_e32 v12, v18, v12, vcc
	v_cmp_ge_u32_e32 vcc, v12, v13
	s_or_b64 s[2:3], vcc, s[2:3]
	s_andn2_b64 exec, exec, s[2:3]
	s_cbranch_execnz .LBB18_21
; %bb.22:
	s_or_b64 exec, exec, s[2:3]
.LBB18_23:
	s_or_b64 exec, exec, s[0:1]
	v_sub_u32_e32 v1, v1, v12
	v_add_u32_e32 v13, s23, v1
	v_cmp_ge_u32_e32 vcc, s23, v12
	v_cmp_ge_u32_e64 s[0:1], s21, v13
	s_or_b64 s[0:1], vcc, s[0:1]
                                        ; implicit-def: $vgpr20
                                        ; implicit-def: $vgpr25
                                        ; implicit-def: $vgpr24
                                        ; implicit-def: $vgpr23
                                        ; implicit-def: $vgpr22
                                        ; implicit-def: $vgpr21
                                        ; implicit-def: $vgpr19
                                        ; implicit-def: $vgpr18
	s_and_saveexec_b64 s[30:31], s[0:1]
	s_cbranch_execz .LBB18_29
; %bb.24:
	v_cmp_gt_u32_e32 vcc, s23, v12
                                        ; implicit-def: $vgpr1
	s_and_saveexec_b64 s[0:1], vcc
	s_cbranch_execz .LBB18_26
; %bb.25:
	v_lshlrev_b32_e32 v1, 2, v12
	ds_read_b32 v1, v1
.LBB18_26:
	s_or_b64 exec, exec, s[0:1]
	v_cmp_le_u32_e64 s[0:1], s21, v13
	v_cmp_gt_u32_e64 s[2:3], s21, v13
                                        ; implicit-def: $vgpr2
	s_and_saveexec_b64 s[4:5], s[2:3]
	s_cbranch_execz .LBB18_28
; %bb.27:
	v_lshlrev_b32_e32 v2, 2, v13
	ds_read_b32 v2, v2
.LBB18_28:
	s_or_b64 exec, exec, s[4:5]
	s_waitcnt lgkmcnt(0)
	v_cmp_le_i32_e64 s[2:3], v1, v2
	s_and_b64 s[2:3], vcc, s[2:3]
	s_or_b64 vcc, s[0:1], s[2:3]
	v_mov_b32_e32 v5, s21
	v_mov_b32_e32 v6, s23
	v_cndmask_b32_e32 v18, v13, v12, vcc
	v_cndmask_b32_e32 v3, v5, v6, vcc
	v_add_u32_e32 v4, 1, v18
	v_add_u32_e32 v3, -1, v3
	v_min_u32_e32 v3, v4, v3
	v_lshlrev_b32_e32 v3, 2, v3
	ds_read_b32 v3, v3
	v_cndmask_b32_e32 v8, v4, v13, vcc
	v_cndmask_b32_e32 v4, v12, v4, vcc
	v_cmp_gt_u32_e64 s[2:3], s23, v4
	v_cmp_le_u32_e64 s[0:1], s21, v8
	s_waitcnt lgkmcnt(0)
	v_cndmask_b32_e32 v7, v3, v2, vcc
	v_cndmask_b32_e32 v3, v1, v3, vcc
	v_cmp_le_i32_e64 s[4:5], v3, v7
	s_and_b64 s[2:3], s[2:3], s[4:5]
	s_or_b64 s[0:1], s[0:1], s[2:3]
	v_cndmask_b32_e64 v19, v8, v4, s[0:1]
	v_cndmask_b32_e64 v9, v5, v6, s[0:1]
	v_add_u32_e32 v12, 1, v19
	v_add_u32_e32 v9, -1, v9
	v_min_u32_e32 v9, v12, v9
	v_lshlrev_b32_e32 v9, 2, v9
	ds_read_b32 v9, v9
	v_cndmask_b32_e64 v4, v4, v12, s[0:1]
	v_cndmask_b32_e64 v8, v12, v8, s[0:1]
	v_cmp_gt_u32_e64 s[4:5], s23, v4
	v_cmp_le_u32_e64 s[2:3], s21, v8
	s_waitcnt lgkmcnt(0)
	v_cndmask_b32_e64 v13, v9, v7, s[0:1]
	v_cndmask_b32_e64 v9, v3, v9, s[0:1]
	v_cmp_le_i32_e64 s[6:7], v9, v13
	s_and_b64 s[4:5], s[4:5], s[6:7]
	s_or_b64 s[2:3], s[2:3], s[4:5]
	v_cndmask_b32_e64 v21, v8, v4, s[2:3]
	v_cndmask_b32_e64 v12, v5, v6, s[2:3]
	v_add_u32_e32 v14, 1, v21
	v_add_u32_e32 v12, -1, v12
	v_min_u32_e32 v12, v14, v12
	v_lshlrev_b32_e32 v12, 2, v12
	ds_read_b32 v12, v12
	v_cndmask_b32_e64 v4, v4, v14, s[2:3]
	v_cndmask_b32_e64 v8, v14, v8, s[2:3]
	v_cmp_gt_u32_e64 s[6:7], s23, v4
	v_cmp_le_u32_e64 s[4:5], s21, v8
	s_waitcnt lgkmcnt(0)
	v_cndmask_b32_e64 v15, v12, v13, s[2:3]
	v_cndmask_b32_e64 v12, v9, v12, s[2:3]
	;; [unrolled: 17-line block ×4, first 2 shown]
	v_cmp_le_i32_e64 s[12:13], v16, v26
	s_and_b64 s[10:11], s[10:11], s[12:13]
	s_or_b64 s[8:9], s[8:9], s[10:11]
	v_cndmask_b32_e64 v24, v8, v20, s[8:9]
	v_cndmask_b32_e64 v4, v5, v6, s[8:9]
	v_add_u32_e32 v25, 1, v24
	v_add_u32_e32 v4, -1, v4
	v_min_u32_e32 v4, v25, v4
	v_lshlrev_b32_e32 v4, 2, v4
	ds_read_b32 v27, v4
	v_cndmask_b32_e32 v2, v2, v1, vcc
	v_cndmask_b32_e64 v4, v13, v9, s[2:3]
	v_cndmask_b32_e64 v20, v20, v25, s[8:9]
	;; [unrolled: 1-line block ×3, first 2 shown]
	s_waitcnt lgkmcnt(0)
	v_cndmask_b32_e64 v1, v27, v26, s[8:9]
	v_cndmask_b32_e64 v9, v16, v27, s[8:9]
	v_cndmask_b32_e64 v13, v25, v8, s[8:9]
	v_cmp_gt_u32_e64 s[0:1], s23, v20
	v_cmp_le_i32_e64 s[2:3], v9, v1
	v_cmp_le_u32_e32 vcc, s21, v13
	s_and_b64 s[0:1], s[0:1], s[2:3]
	s_or_b64 vcc, vcc, s[0:1]
	v_cndmask_b32_e32 v25, v13, v20, vcc
	v_cndmask_b32_e32 v5, v5, v6, vcc
	v_add_u32_e32 v27, 1, v25
	v_add_u32_e32 v5, -1, v5
	v_min_u32_e32 v5, v27, v5
	v_lshlrev_b32_e32 v5, 2, v5
	ds_read_b32 v28, v5
	v_cndmask_b32_e64 v5, v15, v12, s[4:5]
	v_cndmask_b32_e32 v8, v1, v9, vcc
	v_cndmask_b32_e32 v12, v27, v13, vcc
	;; [unrolled: 1-line block ×3, first 2 shown]
	s_waitcnt lgkmcnt(0)
	v_cndmask_b32_e32 v1, v28, v1, vcc
	v_cndmask_b32_e32 v9, v9, v28, vcc
	v_cmp_gt_u32_e64 s[0:1], s23, v13
	v_cmp_le_i32_e64 s[2:3], v9, v1
	v_cmp_le_u32_e32 vcc, s21, v12
	s_and_b64 s[0:1], s[0:1], s[2:3]
	s_or_b64 vcc, vcc, s[0:1]
	v_cndmask_b32_e64 v6, v17, v14, s[6:7]
	v_cndmask_b32_e64 v7, v26, v16, s[8:9]
	v_cndmask_b32_e32 v20, v12, v13, vcc
	v_cndmask_b32_e32 v9, v1, v9, vcc
.LBB18_29:
	s_or_b64 exec, exec, s[30:31]
	s_add_u32 s8, s16, s26
	s_addc_u32 s9, s17, 0
	v_mov_b32_e32 v1, 0
	s_add_u32 s6, s16, s28
	v_cndmask_b32_e64 v12, 0, 1, s[24:25]
	s_addc_u32 s7, s17, 0
	v_cmp_gt_u32_e64 s[4:5], s23, v0
	v_cmp_le_u32_e64 s[2:3], s23, v0
	v_cmp_ne_u32_e64 s[0:1], 1, v12
	s_andn2_b64 vcc, exec, s[24:25]
	v_lshl_add_u64 v[12:13], s[8:9], 0, v[0:1]
	s_barrier
	s_cbranch_vccnz .LBB18_31
; %bb.30:
	v_subrev_u32_e32 v14, s23, v0
	v_mov_b32_e32 v15, v1
	v_lshl_add_u64 v[14:15], s[6:7], 0, v[14:15]
	v_lshl_add_u64 v[26:27], s[8:9], 0, v[0:1]
	v_or_b32_e32 v29, 0x80, v0
	v_cndmask_b32_e64 v15, v15, v27, s[4:5]
	v_cndmask_b32_e64 v14, v14, v26, s[4:5]
	s_mov_b64 s[4:5], 0x80
	v_subrev_u32_e32 v16, s23, v29
	v_mov_b32_e32 v17, v1
	global_load_ubyte v28, v[14:15], off
	v_lshl_add_u64 v[14:15], v[26:27], 0, s[4:5]
	v_lshl_add_u64 v[16:17], s[6:7], 0, v[16:17]
	v_cmp_gt_u32_e32 vcc, s23, v29
	v_or_b32_e32 v30, 0x100, v0
	s_mov_b64 s[4:5], 0x100
	v_cndmask_b32_e32 v15, v17, v15, vcc
	v_cndmask_b32_e32 v14, v16, v14, vcc
	v_subrev_u32_e32 v16, s23, v30
	v_mov_b32_e32 v17, v1
	global_load_ubyte v29, v[14:15], off
	v_lshl_add_u64 v[14:15], v[26:27], 0, s[4:5]
	v_lshl_add_u64 v[16:17], s[6:7], 0, v[16:17]
	v_cmp_gt_u32_e32 vcc, s23, v30
	v_or_b32_e32 v31, 0x180, v0
	s_mov_b64 s[4:5], 0x180
	v_cndmask_b32_e32 v15, v17, v15, vcc
	v_cndmask_b32_e32 v14, v16, v14, vcc
	;; [unrolled: 10-line block ×5, first 2 shown]
	v_subrev_u32_e32 v16, s23, v34
	v_mov_b32_e32 v17, v1
	global_load_ubyte v33, v[14:15], off
	v_lshl_add_u64 v[14:15], v[26:27], 0, s[4:5]
	v_lshl_add_u64 v[16:17], s[6:7], 0, v[16:17]
	v_cmp_gt_u32_e32 vcc, s23, v34
	s_mov_b64 s[4:5], 0x380
	s_nop 0
	v_cndmask_b32_e32 v15, v17, v15, vcc
	v_cndmask_b32_e32 v14, v16, v14, vcc
	global_load_ubyte v17, v[14:15], off
	v_or_b32_e32 v16, 0x380, v0
	v_lshl_add_u64 v[14:15], v[26:27], 0, s[4:5]
	v_subrev_u32_e32 v26, s23, v16
	v_mov_b32_e32 v27, v1
	v_lshl_add_u64 v[26:27], s[6:7], 0, v[26:27]
	v_cmp_gt_u32_e32 vcc, s23, v16
	s_mov_b64 s[4:5], -1
	s_waitcnt vmcnt(6)
	ds_write_b8 v0, v28
	s_waitcnt vmcnt(5)
	ds_write_b8 v0, v29 offset:128
	s_waitcnt vmcnt(4)
	ds_write_b8 v0, v30 offset:256
	;; [unrolled: 2-line block ×6, first 2 shown]
	v_cndmask_b32_e32 v15, v27, v15, vcc
	v_cndmask_b32_e32 v14, v26, v14, vcc
	s_cbranch_execz .LBB18_32
	s_branch .LBB18_67
.LBB18_31:
	s_mov_b64 s[4:5], 0
                                        ; implicit-def: $vgpr16
                                        ; implicit-def: $vgpr14_vgpr15
.LBB18_32:
	s_mov_b64 s[8:9], 0
                                        ; implicit-def: $vgpr14_vgpr15
	s_and_saveexec_b64 s[10:11], s[2:3]
	s_xor_b64 s[2:3], exec, s[10:11]
	s_cbranch_execnz .LBB18_108
; %bb.33:
	s_andn2_saveexec_b64 s[2:3], s[2:3]
	s_cbranch_execnz .LBB18_111
.LBB18_34:
	s_or_b64 exec, exec, s[2:3]
	s_and_saveexec_b64 s[2:3], s[8:9]
	s_cbranch_execz .LBB18_36
.LBB18_35:
	global_load_ubyte v1, v[14:15], off
	s_waitcnt vmcnt(0)
	ds_write_b8 v0, v1
.LBB18_36:
	s_or_b64 exec, exec, s[2:3]
	v_or_b32_e32 v14, 0x80, v0
	v_cmp_le_u32_e32 vcc, s23, v14
	s_mov_b64 s[2:3], -1
	v_mov_b64_e32 v[16:17], s[26:27]
	s_and_saveexec_b64 s[8:9], vcc
; %bb.37:
	v_subrev_u32_e32 v14, s23, v14
	v_cmp_gt_u32_e32 vcc, s33, v14
	v_mov_b64_e32 v[16:17], s[28:29]
	s_orn2_b64 s[2:3], vcc, exec
; %bb.38:
	s_or_b64 exec, exec, s[8:9]
	s_and_saveexec_b64 s[8:9], s[2:3]
	s_cbranch_execz .LBB18_40
; %bb.39:
	v_lshl_add_u64 v[16:17], s[16:17], 0, v[16:17]
	v_mov_b32_e32 v15, 0
	v_lshl_add_u64 v[14:15], v[16:17], 0, v[14:15]
	global_load_ubyte v1, v[14:15], off
	s_waitcnt vmcnt(0)
	ds_write_b8 v0, v1 offset:128
.LBB18_40:
	s_or_b64 exec, exec, s[8:9]
	v_or_b32_e32 v14, 0x100, v0
	v_cmp_le_u32_e32 vcc, s23, v14
	s_mov_b64 s[2:3], -1
	v_mov_b64_e32 v[16:17], s[26:27]
	s_and_saveexec_b64 s[8:9], vcc
; %bb.41:
	v_subrev_u32_e32 v14, s23, v14
	v_cmp_gt_u32_e32 vcc, s33, v14
	v_mov_b64_e32 v[16:17], s[28:29]
	s_orn2_b64 s[2:3], vcc, exec
; %bb.42:
	s_or_b64 exec, exec, s[8:9]
	s_and_saveexec_b64 s[8:9], s[2:3]
	s_cbranch_execz .LBB18_44
; %bb.43:
	v_lshl_add_u64 v[16:17], s[16:17], 0, v[16:17]
	v_mov_b32_e32 v15, 0
	v_lshl_add_u64 v[14:15], v[16:17], 0, v[14:15]
	global_load_ubyte v1, v[14:15], off
	s_waitcnt vmcnt(0)
	ds_write_b8 v0, v1 offset:256
.LBB18_44:
	;; [unrolled: 23-line block ×6, first 2 shown]
	s_or_b64 exec, exec, s[8:9]
	v_or_b32_e32 v1, 0x380, v0
	v_cmp_le_u32_e32 vcc, s23, v1
                                        ; implicit-def: $vgpr16
                                        ; implicit-def: $vgpr14_vgpr15
	s_and_saveexec_b64 s[2:3], vcc
	s_xor_b64 s[2:3], exec, s[2:3]
	s_cbranch_execz .LBB18_64
; %bb.61:
	v_subrev_u32_e32 v12, s23, v1
	v_cmp_gt_u32_e32 vcc, s33, v12
	s_mov_b64 s[8:9], s[4:5]
                                        ; implicit-def: $vgpr16
                                        ; implicit-def: $vgpr14_vgpr15
	s_and_saveexec_b64 s[10:11], vcc
; %bb.62:
	v_mov_b32_e32 v13, 0
	v_or_b32_e32 v16, 0x380, v0
	v_lshl_add_u64 v[14:15], s[6:7], 0, v[12:13]
	s_or_b64 s[8:9], s[4:5], exec
; %bb.63:
	s_or_b64 exec, exec, s[10:11]
	s_andn2_b64 s[4:5], s[4:5], exec
	s_and_b64 s[6:7], s[8:9], exec
	s_or_b64 s[4:5], s[4:5], s[6:7]
                                        ; implicit-def: $vgpr12_vgpr13
.LBB18_64:
	s_andn2_saveexec_b64 s[2:3], s[2:3]
; %bb.65:
	s_mov_b64 s[6:7], 0x380
	v_lshl_add_u64 v[14:15], v[12:13], 0, s[6:7]
	v_or_b32_e32 v16, 0x380, v0
	s_or_b64 s[4:5], s[4:5], exec
; %bb.66:
	s_or_b64 exec, exec, s[2:3]
.LBB18_67:
	s_and_saveexec_b64 s[2:3], s[4:5]
	s_cbranch_execz .LBB18_69
; %bb.68:
	global_load_ubyte v1, v[14:15], off
	s_waitcnt vmcnt(0)
	ds_write_b8 v16, v1
.LBB18_69:
	s_or_b64 exec, exec, s[2:3]
	s_and_b64 vcc, exec, s[0:1]
	v_add_u32_e32 v12, s22, v11
	s_waitcnt lgkmcnt(0)
	s_barrier
	s_cbranch_vccnz .LBB18_71
; %bb.70:
	ds_read_u8 v1, v18
	ds_read_u8 v14, v19
	;; [unrolled: 1-line block ×7, first 2 shown]
	s_waitcnt lgkmcnt(5)
	v_lshlrev_b16_e32 v14, 8, v14
	v_or_b32_e32 v1, v1, v14
	s_waitcnt lgkmcnt(3)
	v_lshlrev_b16_e32 v14, 8, v16
	v_or_b32_sdwa v14, v15, v14 dst_sel:WORD_1 dst_unused:UNUSED_PAD src0_sel:DWORD src1_sel:DWORD
	v_mov_b32_e32 v13, 0
	v_or_b32_sdwa v1, v1, v14 dst_sel:DWORD dst_unused:UNUSED_PAD src0_sel:WORD_0 src1_sel:DWORD
	s_waitcnt lgkmcnt(1)
	v_lshlrev_b16_e32 v14, 8, v26
	s_mov_b64 s[0:1], -1
	v_or_b32_e32 v14, v17, v14
	s_waitcnt lgkmcnt(0)
	global_store_byte v12, v27, s[18:19] offset:6
	global_store_short v12, v14, s[18:19] offset:4
	global_store_dword v12, v1, s[18:19]
	s_cbranch_execz .LBB18_72
	s_branch .LBB18_89
.LBB18_71:
	s_mov_b64 s[0:1], 0
.LBB18_72:
	v_cmp_gt_u32_e32 vcc, s21, v11
	s_and_saveexec_b64 s[2:3], vcc
	s_cbranch_execz .LBB18_74
; %bb.73:
	ds_read_u8 v1, v18
	s_waitcnt lgkmcnt(0)
	global_store_byte v12, v1, s[18:19]
.LBB18_74:
	s_or_b64 exec, exec, s[2:3]
	v_or_b32_e32 v1, 1, v11
	v_cmp_gt_u32_e32 vcc, s21, v1
	s_and_saveexec_b64 s[2:3], vcc
	s_cbranch_execz .LBB18_76
; %bb.75:
	ds_read_u8 v1, v19
	s_waitcnt lgkmcnt(0)
	global_store_byte v12, v1, s[18:19] offset:1
.LBB18_76:
	s_or_b64 exec, exec, s[2:3]
	v_or_b32_e32 v1, 2, v11
	v_cmp_gt_u32_e32 vcc, s21, v1
	s_and_saveexec_b64 s[2:3], vcc
	s_cbranch_execz .LBB18_78
; %bb.77:
	ds_read_u8 v1, v21
	s_waitcnt lgkmcnt(0)
	global_store_byte v12, v1, s[18:19] offset:2
.LBB18_78:
	;; [unrolled: 10-line block ×6, first 2 shown]
	s_or_b64 exec, exec, s[2:3]
	v_or_b32_e32 v1, 7, v11
	v_cmp_gt_u32_e32 vcc, s21, v1
	s_and_saveexec_b64 s[2:3], vcc
; %bb.87:
	v_mov_b32_e32 v13, 0
	s_or_b64 s[0:1], s[0:1], exec
; %bb.88:
	s_or_b64 exec, exec, s[2:3]
.LBB18_89:
	s_and_saveexec_b64 s[2:3], s[0:1]
	s_cbranch_execz .LBB18_91
; %bb.90:
	ds_read_u8 v1, v20
	v_lshl_add_u64 v[12:13], s[18:19], 0, v[12:13]
	s_waitcnt lgkmcnt(0)
	global_store_byte v[12:13], v1, off offset:7
.LBB18_91:
	s_or_b64 exec, exec, s[2:3]
	v_and_b32_e32 v1, 0x7c, v0
	v_lshl_add_u32 v1, v11, 2, v1
	s_barrier
	s_barrier
	ds_write2_b32 v1, v2, v3 offset1:1
	ds_write2_b32 v1, v4, v5 offset0:2 offset1:3
	ds_write2_b32 v1, v6, v7 offset0:4 offset1:5
	;; [unrolled: 1-line block ×3, first 2 shown]
	v_lshrrev_b32_e32 v1, 3, v0
	v_and_b32_e32 v1, 12, v1
	v_or_b32_e32 v11, 0x80, v0
	v_add_u32_e32 v12, v10, v1
	v_lshrrev_b32_e32 v1, 3, v11
	v_and_b32_e32 v1, 28, v1
	v_or_b32_e32 v9, 0x100, v0
	v_add_u32_e32 v13, v10, v1
	;; [unrolled: 4-line block ×6, first 2 shown]
	v_lshrrev_b32_e32 v1, 3, v4
	v_and_b32_e32 v1, 0x6c, v1
	s_mov_b32 s23, 0
	v_add_u32_e32 v18, v10, v1
	v_or_b32_e32 v1, 0x380, v0
	s_lshl_b64 s[0:1], s[22:23], 2
	v_lshrrev_b32_e32 v2, 3, v1
	s_add_u32 s0, s14, s0
	v_and_b32_e32 v2, 0x7c, v2
	s_addc_u32 s1, s15, s1
	v_add_u32_e32 v19, v10, v2
	v_lshlrev_b32_e32 v2, 2, v0
	v_mov_b32_e32 v3, 0
	v_lshl_add_u64 v[2:3], s[0:1], 0, v[2:3]
	s_and_b64 vcc, exec, s[24:25]
	s_waitcnt lgkmcnt(0)
	s_cbranch_vccz .LBB18_93
; %bb.92:
	s_barrier
	ds_read_b32 v10, v12
	ds_read_b32 v20, v13 offset:512
	ds_read_b32 v21, v14 offset:1024
	;; [unrolled: 1-line block ×7, first 2 shown]
	s_waitcnt lgkmcnt(7)
	global_store_dword v[2:3], v10, off
	s_waitcnt lgkmcnt(6)
	global_store_dword v[2:3], v20, off offset:512
	s_waitcnt lgkmcnt(5)
	global_store_dword v[2:3], v21, off offset:1024
	;; [unrolled: 2-line block ×6, first 2 shown]
	s_mov_b64 s[0:1], -1
	s_cbranch_execz .LBB18_94
	s_branch .LBB18_103
.LBB18_93:
	s_mov_b64 s[0:1], 0
                                        ; implicit-def: $vgpr7
.LBB18_94:
	s_barrier
	s_waitcnt lgkmcnt(0)
	ds_read_b32 v21, v13 offset:512
	ds_read_b32 v20, v14 offset:1024
	;; [unrolled: 1-line block ×7, first 2 shown]
	s_sub_i32 s2, s20, s22
	v_cmp_gt_u32_e32 vcc, s2, v0
	s_and_saveexec_b64 s[0:1], vcc
	s_cbranch_execnz .LBB18_112
; %bb.95:
	s_or_b64 exec, exec, s[0:1]
	v_cmp_gt_u32_e32 vcc, s2, v11
	s_and_saveexec_b64 s[0:1], vcc
	s_cbranch_execnz .LBB18_113
.LBB18_96:
	s_or_b64 exec, exec, s[0:1]
	v_cmp_gt_u32_e32 vcc, s2, v9
	s_and_saveexec_b64 s[0:1], vcc
	s_cbranch_execnz .LBB18_114
.LBB18_97:
	s_or_b64 exec, exec, s[0:1]
	v_cmp_gt_u32_e32 vcc, s2, v8
	s_and_saveexec_b64 s[0:1], vcc
	s_cbranch_execnz .LBB18_115
.LBB18_98:
	s_or_b64 exec, exec, s[0:1]
	v_cmp_gt_u32_e32 vcc, s2, v6
	s_and_saveexec_b64 s[0:1], vcc
	s_cbranch_execnz .LBB18_116
.LBB18_99:
	s_or_b64 exec, exec, s[0:1]
	v_cmp_gt_u32_e32 vcc, s2, v5
	s_and_saveexec_b64 s[0:1], vcc
	s_cbranch_execnz .LBB18_117
.LBB18_100:
	s_or_b64 exec, exec, s[0:1]
	v_cmp_gt_u32_e32 vcc, s2, v4
	s_and_saveexec_b64 s[0:1], vcc
	s_cbranch_execz .LBB18_102
.LBB18_101:
	s_waitcnt lgkmcnt(1)
	global_store_dword v[2:3], v10, off offset:3072
.LBB18_102:
	s_or_b64 exec, exec, s[0:1]
	v_cmp_gt_u32_e64 s[0:1], s2, v1
.LBB18_103:
	s_and_saveexec_b64 s[2:3], s[0:1]
	s_cbranch_execz .LBB18_105
; %bb.104:
	s_waitcnt lgkmcnt(0)
	global_store_dword v[2:3], v7, off offset:3584
.LBB18_105:
	s_endpgm
.LBB18_106:
	v_mov_b32_e32 v11, 0
	s_waitcnt vmcnt(5)
	v_subrev_u32_e32 v4, s23, v0
	s_waitcnt vmcnt(4)
	v_mov_b32_e32 v5, v11
	v_lshl_add_u64 v[2:3], s[0:1], 0, v[10:11]
	v_lshl_add_u64 v[4:5], v[4:5], 2, s[4:5]
	v_cmp_gt_u32_e32 vcc, s23, v0
	s_nop 1
	v_cndmask_b32_e32 v3, v5, v3, vcc
	v_cndmask_b32_e32 v2, v4, v2, vcc
	global_load_dword v2, v[2:3], off
	s_or_b64 exec, exec, s[2:3]
	v_cmp_gt_u32_e32 vcc, s21, v14
	s_and_saveexec_b64 s[2:3], vcc
	s_cbranch_execz .LBB18_6
.LBB18_107:
	v_mov_b32_e32 v15, 0
	v_lshl_add_u64 v[16:17], v[14:15], 2, s[0:1]
	v_cmp_gt_u32_e32 vcc, s23, v14
	v_subrev_u32_e32 v14, s23, v14
	v_lshl_add_u64 v[14:15], v[14:15], 2, s[4:5]
	v_cndmask_b32_e32 v15, v15, v17, vcc
	v_cndmask_b32_e32 v14, v14, v16, vcc
	global_load_dword v3, v[14:15], off
	s_or_b64 exec, exec, s[2:3]
	v_cmp_gt_u32_e32 vcc, s21, v12
	s_and_saveexec_b64 s[2:3], vcc
	s_cbranch_execnz .LBB18_7
	s_branch .LBB18_8
.LBB18_108:
	v_subrev_u32_e32 v16, s23, v0
	v_cmp_gt_u32_e32 vcc, s33, v16
                                        ; implicit-def: $vgpr14_vgpr15
	s_and_saveexec_b64 s[10:11], vcc
	s_xor_b64 s[10:11], exec, s[10:11]
; %bb.109:
	v_mov_b32_e32 v17, 0
	s_mov_b64 s[8:9], exec
	v_lshl_add_u64 v[14:15], s[6:7], 0, v[16:17]
; %bb.110:
	s_or_b64 exec, exec, s[10:11]
	s_and_b64 s[8:9], s[8:9], exec
	s_andn2_saveexec_b64 s[2:3], s[2:3]
	s_cbranch_execz .LBB18_34
.LBB18_111:
	s_or_b64 s[8:9], s[8:9], exec
	v_mov_b64_e32 v[14:15], v[12:13]
	s_or_b64 exec, exec, s[2:3]
	s_and_saveexec_b64 s[2:3], s[8:9]
	s_cbranch_execnz .LBB18_35
	s_branch .LBB18_36
.LBB18_112:
	ds_read_b32 v0, v12
	s_waitcnt lgkmcnt(0)
	global_store_dword v[2:3], v0, off
	s_or_b64 exec, exec, s[0:1]
	v_cmp_gt_u32_e32 vcc, s2, v11
	s_and_saveexec_b64 s[0:1], vcc
	s_cbranch_execz .LBB18_96
.LBB18_113:
	s_waitcnt lgkmcnt(6)
	global_store_dword v[2:3], v21, off offset:512
	s_or_b64 exec, exec, s[0:1]
	v_cmp_gt_u32_e32 vcc, s2, v9
	s_and_saveexec_b64 s[0:1], vcc
	s_cbranch_execz .LBB18_97
.LBB18_114:
	s_waitcnt lgkmcnt(5)
	global_store_dword v[2:3], v20, off offset:1024
	s_or_b64 exec, exec, s[0:1]
	v_cmp_gt_u32_e32 vcc, s2, v8
	s_and_saveexec_b64 s[0:1], vcc
	s_cbranch_execz .LBB18_98
.LBB18_115:
	s_waitcnt lgkmcnt(4)
	global_store_dword v[2:3], v15, off offset:1536
	s_or_b64 exec, exec, s[0:1]
	v_cmp_gt_u32_e32 vcc, s2, v6
	s_and_saveexec_b64 s[0:1], vcc
	s_cbranch_execz .LBB18_99
.LBB18_116:
	s_waitcnt lgkmcnt(3)
	global_store_dword v[2:3], v14, off offset:2048
	s_or_b64 exec, exec, s[0:1]
	v_cmp_gt_u32_e32 vcc, s2, v5
	s_and_saveexec_b64 s[0:1], vcc
	s_cbranch_execz .LBB18_100
.LBB18_117:
	s_waitcnt lgkmcnt(2)
	global_store_dword v[2:3], v13, off offset:2560
	s_or_b64 exec, exec, s[0:1]
	v_cmp_gt_u32_e32 vcc, s2, v4
	s_and_saveexec_b64 s[0:1], vcc
	s_cbranch_execnz .LBB18_101
	s_branch .LBB18_102
	.section	.rodata,"a",@progbits
	.p2align	6, 0x0
	.amdhsa_kernel _ZN7rocprim17ROCPRIM_304000_NS6detail35device_block_merge_mergepath_kernelINS1_37wrapped_merge_sort_block_merge_configINS0_14default_configEiN2at4cuda3cub6detail10OpaqueTypeILi1EEEEEPiSC_PSA_SD_jNS1_19radix_merge_compareILb0ELb0EiNS0_19identity_decomposerEEEEEvT0_T1_T2_T3_T4_SL_jT5_PKSL_NS1_7vsmem_tE
		.amdhsa_group_segment_fixed_size 4224
		.amdhsa_private_segment_fixed_size 0
		.amdhsa_kernarg_size 320
		.amdhsa_user_sgpr_count 2
		.amdhsa_user_sgpr_dispatch_ptr 0
		.amdhsa_user_sgpr_queue_ptr 0
		.amdhsa_user_sgpr_kernarg_segment_ptr 1
		.amdhsa_user_sgpr_dispatch_id 0
		.amdhsa_user_sgpr_kernarg_preload_length 0
		.amdhsa_user_sgpr_kernarg_preload_offset 0
		.amdhsa_user_sgpr_private_segment_size 0
		.amdhsa_uses_dynamic_stack 0
		.amdhsa_enable_private_segment 0
		.amdhsa_system_sgpr_workgroup_id_x 1
		.amdhsa_system_sgpr_workgroup_id_y 1
		.amdhsa_system_sgpr_workgroup_id_z 1
		.amdhsa_system_sgpr_workgroup_info 0
		.amdhsa_system_vgpr_workitem_id 0
		.amdhsa_next_free_vgpr 35
		.amdhsa_next_free_sgpr 34
		.amdhsa_accum_offset 36
		.amdhsa_reserve_vcc 1
		.amdhsa_float_round_mode_32 0
		.amdhsa_float_round_mode_16_64 0
		.amdhsa_float_denorm_mode_32 3
		.amdhsa_float_denorm_mode_16_64 3
		.amdhsa_dx10_clamp 1
		.amdhsa_ieee_mode 1
		.amdhsa_fp16_overflow 0
		.amdhsa_tg_split 0
		.amdhsa_exception_fp_ieee_invalid_op 0
		.amdhsa_exception_fp_denorm_src 0
		.amdhsa_exception_fp_ieee_div_zero 0
		.amdhsa_exception_fp_ieee_overflow 0
		.amdhsa_exception_fp_ieee_underflow 0
		.amdhsa_exception_fp_ieee_inexact 0
		.amdhsa_exception_int_div_zero 0
	.end_amdhsa_kernel
	.section	.text._ZN7rocprim17ROCPRIM_304000_NS6detail35device_block_merge_mergepath_kernelINS1_37wrapped_merge_sort_block_merge_configINS0_14default_configEiN2at4cuda3cub6detail10OpaqueTypeILi1EEEEEPiSC_PSA_SD_jNS1_19radix_merge_compareILb0ELb0EiNS0_19identity_decomposerEEEEEvT0_T1_T2_T3_T4_SL_jT5_PKSL_NS1_7vsmem_tE,"axG",@progbits,_ZN7rocprim17ROCPRIM_304000_NS6detail35device_block_merge_mergepath_kernelINS1_37wrapped_merge_sort_block_merge_configINS0_14default_configEiN2at4cuda3cub6detail10OpaqueTypeILi1EEEEEPiSC_PSA_SD_jNS1_19radix_merge_compareILb0ELb0EiNS0_19identity_decomposerEEEEEvT0_T1_T2_T3_T4_SL_jT5_PKSL_NS1_7vsmem_tE,comdat
.Lfunc_end18:
	.size	_ZN7rocprim17ROCPRIM_304000_NS6detail35device_block_merge_mergepath_kernelINS1_37wrapped_merge_sort_block_merge_configINS0_14default_configEiN2at4cuda3cub6detail10OpaqueTypeILi1EEEEEPiSC_PSA_SD_jNS1_19radix_merge_compareILb0ELb0EiNS0_19identity_decomposerEEEEEvT0_T1_T2_T3_T4_SL_jT5_PKSL_NS1_7vsmem_tE, .Lfunc_end18-_ZN7rocprim17ROCPRIM_304000_NS6detail35device_block_merge_mergepath_kernelINS1_37wrapped_merge_sort_block_merge_configINS0_14default_configEiN2at4cuda3cub6detail10OpaqueTypeILi1EEEEEPiSC_PSA_SD_jNS1_19radix_merge_compareILb0ELb0EiNS0_19identity_decomposerEEEEEvT0_T1_T2_T3_T4_SL_jT5_PKSL_NS1_7vsmem_tE
                                        ; -- End function
	.section	.AMDGPU.csdata,"",@progbits
; Kernel info:
; codeLenInByte = 5252
; NumSgprs: 40
; NumVgprs: 35
; NumAgprs: 0
; TotalNumVgprs: 35
; ScratchSize: 0
; MemoryBound: 0
; FloatMode: 240
; IeeeMode: 1
; LDSByteSize: 4224 bytes/workgroup (compile time only)
; SGPRBlocks: 4
; VGPRBlocks: 4
; NumSGPRsForWavesPerEU: 40
; NumVGPRsForWavesPerEU: 35
; AccumOffset: 36
; Occupancy: 8
; WaveLimiterHint : 1
; COMPUTE_PGM_RSRC2:SCRATCH_EN: 0
; COMPUTE_PGM_RSRC2:USER_SGPR: 2
; COMPUTE_PGM_RSRC2:TRAP_HANDLER: 0
; COMPUTE_PGM_RSRC2:TGID_X_EN: 1
; COMPUTE_PGM_RSRC2:TGID_Y_EN: 1
; COMPUTE_PGM_RSRC2:TGID_Z_EN: 1
; COMPUTE_PGM_RSRC2:TIDIG_COMP_CNT: 0
; COMPUTE_PGM_RSRC3_GFX90A:ACCUM_OFFSET: 8
; COMPUTE_PGM_RSRC3_GFX90A:TG_SPLIT: 0
	.section	.text._ZN7rocprim17ROCPRIM_304000_NS6detail33device_block_merge_oddeven_kernelINS1_37wrapped_merge_sort_block_merge_configINS0_14default_configEiN2at4cuda3cub6detail10OpaqueTypeILi1EEEEEPiSC_PSA_SD_jNS1_19radix_merge_compareILb0ELb0EiNS0_19identity_decomposerEEEEEvT0_T1_T2_T3_T4_SL_T5_,"axG",@progbits,_ZN7rocprim17ROCPRIM_304000_NS6detail33device_block_merge_oddeven_kernelINS1_37wrapped_merge_sort_block_merge_configINS0_14default_configEiN2at4cuda3cub6detail10OpaqueTypeILi1EEEEEPiSC_PSA_SD_jNS1_19radix_merge_compareILb0ELb0EiNS0_19identity_decomposerEEEEEvT0_T1_T2_T3_T4_SL_T5_,comdat
	.protected	_ZN7rocprim17ROCPRIM_304000_NS6detail33device_block_merge_oddeven_kernelINS1_37wrapped_merge_sort_block_merge_configINS0_14default_configEiN2at4cuda3cub6detail10OpaqueTypeILi1EEEEEPiSC_PSA_SD_jNS1_19radix_merge_compareILb0ELb0EiNS0_19identity_decomposerEEEEEvT0_T1_T2_T3_T4_SL_T5_ ; -- Begin function _ZN7rocprim17ROCPRIM_304000_NS6detail33device_block_merge_oddeven_kernelINS1_37wrapped_merge_sort_block_merge_configINS0_14default_configEiN2at4cuda3cub6detail10OpaqueTypeILi1EEEEEPiSC_PSA_SD_jNS1_19radix_merge_compareILb0ELb0EiNS0_19identity_decomposerEEEEEvT0_T1_T2_T3_T4_SL_T5_
	.globl	_ZN7rocprim17ROCPRIM_304000_NS6detail33device_block_merge_oddeven_kernelINS1_37wrapped_merge_sort_block_merge_configINS0_14default_configEiN2at4cuda3cub6detail10OpaqueTypeILi1EEEEEPiSC_PSA_SD_jNS1_19radix_merge_compareILb0ELb0EiNS0_19identity_decomposerEEEEEvT0_T1_T2_T3_T4_SL_T5_
	.p2align	8
	.type	_ZN7rocprim17ROCPRIM_304000_NS6detail33device_block_merge_oddeven_kernelINS1_37wrapped_merge_sort_block_merge_configINS0_14default_configEiN2at4cuda3cub6detail10OpaqueTypeILi1EEEEEPiSC_PSA_SD_jNS1_19radix_merge_compareILb0ELb0EiNS0_19identity_decomposerEEEEEvT0_T1_T2_T3_T4_SL_T5_,@function
_ZN7rocprim17ROCPRIM_304000_NS6detail33device_block_merge_oddeven_kernelINS1_37wrapped_merge_sort_block_merge_configINS0_14default_configEiN2at4cuda3cub6detail10OpaqueTypeILi1EEEEEPiSC_PSA_SD_jNS1_19radix_merge_compareILb0ELb0EiNS0_19identity_decomposerEEEEEvT0_T1_T2_T3_T4_SL_T5_: ; @_ZN7rocprim17ROCPRIM_304000_NS6detail33device_block_merge_oddeven_kernelINS1_37wrapped_merge_sort_block_merge_configINS0_14default_configEiN2at4cuda3cub6detail10OpaqueTypeILi1EEEEEPiSC_PSA_SD_jNS1_19radix_merge_compareILb0ELb0EiNS0_19identity_decomposerEEEEEvT0_T1_T2_T3_T4_SL_T5_
; %bb.0:
	s_load_dwordx2 s[6:7], s[0:1], 0x20
	s_waitcnt lgkmcnt(0)
	s_lshr_b32 s3, s6, 8
	s_cmp_lg_u32 s2, s3
	s_cselect_b64 s[8:9], -1, 0
	s_cmp_eq_u32 s2, s3
	s_cselect_b64 s[16:17], -1, 0
	s_lshl_b32 s18, s2, 8
	s_sub_i32 s3, s6, s18
	v_cmp_gt_u32_e64 s[4:5], s3, v0
	s_or_b64 s[8:9], s[8:9], s[4:5]
	s_and_saveexec_b64 s[10:11], s[8:9]
	s_cbranch_execz .LBB19_26
; %bb.1:
	s_load_dwordx8 s[8:15], s[0:1], 0x0
	s_mov_b32 s19, 0
	s_lshl_b64 s[0:1], s[18:19], 2
	v_lshlrev_b32_e32 v1, 2, v0
	v_add_u32_e32 v2, s18, v0
	s_waitcnt lgkmcnt(0)
	s_add_u32 s0, s8, s0
	s_addc_u32 s1, s9, s1
	s_add_u32 s12, s12, s18
	s_addc_u32 s13, s13, 0
	global_load_ubyte v4, v0, s[12:13]
	global_load_dword v5, v1, s[0:1]
	s_lshr_b32 s0, s7, 8
	s_sub_i32 s1, 0, s0
	s_and_b32 s1, s2, s1
	s_and_b32 s0, s1, s0
	s_lshl_b32 s21, s1, 8
	s_sub_i32 s12, 0, s7
	s_cmp_eq_u32 s0, 0
	s_cselect_b64 s[0:1], -1, 0
	s_and_b64 s[2:3], s[0:1], exec
	s_cselect_b32 s20, s7, s12
	s_add_i32 s20, s20, s21
	s_cmp_lt_u32 s20, s6
	s_cbranch_scc1 .LBB19_6
; %bb.2:
	s_and_b64 vcc, exec, s[16:17]
	s_cbranch_vccz .LBB19_7
; %bb.3:
	v_cmp_gt_u32_e32 vcc, s6, v2
	s_mov_b64 s[12:13], 0
	s_mov_b64 s[2:3], 0
                                        ; implicit-def: $vgpr0_vgpr1
	s_and_saveexec_b64 s[18:19], vcc
	s_cbranch_execz .LBB19_5
; %bb.4:
	v_mov_b32_e32 v3, 0
	s_mov_b64 s[2:3], exec
	v_lshl_add_u64 v[0:1], s[14:15], 0, v[2:3]
	v_lshl_add_u64 v[6:7], v[2:3], 2, s[10:11]
	s_waitcnt vmcnt(0)
	global_store_dword v[6:7], v5, off
.LBB19_5:
	s_or_b64 exec, exec, s[18:19]
	s_and_b64 vcc, exec, s[12:13]
	s_cbranch_vccnz .LBB19_8
	s_branch .LBB19_9
.LBB19_6:
	s_mov_b64 s[2:3], 0
                                        ; implicit-def: $vgpr0_vgpr1
	s_cbranch_execnz .LBB19_10
	s_branch .LBB19_24
.LBB19_7:
	s_mov_b64 s[2:3], 0
                                        ; implicit-def: $vgpr0_vgpr1
	s_cbranch_execz .LBB19_9
.LBB19_8:
	v_mov_b32_e32 v3, 0
	v_lshl_add_u64 v[0:1], v[2:3], 2, s[10:11]
	s_waitcnt vmcnt(0)
	global_store_dword v[0:1], v5, off
	v_lshl_add_u64 v[0:1], s[14:15], 0, v[2:3]
	s_or_b64 s[2:3], s[2:3], exec
.LBB19_9:
	s_branch .LBB19_24
.LBB19_10:
	s_min_u32 s12, s20, s6
	s_add_i32 s7, s12, s7
	s_min_u32 s13, s7, s6
	s_min_u32 s6, s21, s12
	s_add_i32 s21, s21, s12
	v_subrev_u32_e32 v0, s21, v2
	v_add_u32_e32 v2, s6, v0
	s_and_b64 vcc, exec, s[16:17]
	s_cbranch_vccz .LBB19_18
; %bb.11:
                                        ; implicit-def: $vgpr0_vgpr1
	s_and_saveexec_b64 s[6:7], s[4:5]
	s_cbranch_execz .LBB19_17
; %bb.12:
	s_cmp_ge_u32 s20, s13
	v_mov_b32_e32 v3, s12
	s_cbranch_scc1 .LBB19_16
; %bb.13:
	s_mov_b64 s[4:5], 0
	v_mov_b32_e32 v6, s13
	v_mov_b32_e32 v3, s12
	;; [unrolled: 1-line block ×3, first 2 shown]
.LBB19_14:                              ; =>This Inner Loop Header: Depth=1
	v_add_u32_e32 v0, v3, v6
	v_lshrrev_b32_e32 v0, 1, v0
	v_lshl_add_u64 v[8:9], v[0:1], 2, s[8:9]
	global_load_dword v7, v[8:9], off
	v_add_u32_e32 v8, 1, v0
	s_waitcnt vmcnt(0)
	v_cmp_gt_i32_e32 vcc, v5, v7
	s_nop 1
	v_cndmask_b32_e64 v9, 0, 1, vcc
	v_cmp_le_i32_e32 vcc, v7, v5
	s_nop 1
	v_cndmask_b32_e64 v7, 0, 1, vcc
	v_cndmask_b32_e64 v7, v7, v9, s[0:1]
	v_and_b32_e32 v7, 1, v7
	v_cmp_eq_u32_e32 vcc, 1, v7
	s_nop 1
	v_cndmask_b32_e32 v6, v0, v6, vcc
	v_cndmask_b32_e32 v3, v3, v8, vcc
	v_cmp_ge_u32_e32 vcc, v3, v6
	s_or_b64 s[4:5], vcc, s[4:5]
	s_andn2_b64 exec, exec, s[4:5]
	s_cbranch_execnz .LBB19_14
; %bb.15:
	s_or_b64 exec, exec, s[4:5]
.LBB19_16:
	v_add_u32_e32 v0, v3, v2
	v_mov_b32_e32 v1, 0
	v_lshl_add_u64 v[6:7], v[0:1], 2, s[10:11]
	s_waitcnt vmcnt(0)
	global_store_dword v[6:7], v5, off
	v_lshl_add_u64 v[0:1], s[14:15], 0, v[0:1]
	s_or_b64 s[2:3], s[2:3], exec
.LBB19_17:
	s_or_b64 exec, exec, s[6:7]
	s_branch .LBB19_24
.LBB19_18:
                                        ; implicit-def: $vgpr0_vgpr1
	s_cbranch_execz .LBB19_24
; %bb.19:
	s_cmp_ge_u32 s20, s13
	v_mov_b32_e32 v3, s12
	s_cbranch_scc1 .LBB19_23
; %bb.20:
	s_mov_b64 s[2:3], 0
	v_mov_b32_e32 v6, s13
	v_mov_b32_e32 v3, s12
	;; [unrolled: 1-line block ×3, first 2 shown]
.LBB19_21:                              ; =>This Inner Loop Header: Depth=1
	v_add_u32_e32 v0, v3, v6
	v_lshrrev_b32_e32 v0, 1, v0
	v_lshl_add_u64 v[8:9], v[0:1], 2, s[8:9]
	global_load_dword v7, v[8:9], off
	v_add_u32_e32 v8, 1, v0
	s_waitcnt vmcnt(0)
	v_cmp_gt_i32_e32 vcc, v5, v7
	s_nop 1
	v_cndmask_b32_e64 v9, 0, 1, vcc
	v_cmp_le_i32_e32 vcc, v7, v5
	s_nop 1
	v_cndmask_b32_e64 v7, 0, 1, vcc
	v_cndmask_b32_e64 v7, v7, v9, s[0:1]
	v_and_b32_e32 v7, 1, v7
	v_cmp_eq_u32_e32 vcc, 1, v7
	s_nop 1
	v_cndmask_b32_e32 v6, v0, v6, vcc
	v_cndmask_b32_e32 v3, v3, v8, vcc
	v_cmp_ge_u32_e32 vcc, v3, v6
	s_or_b64 s[2:3], vcc, s[2:3]
	s_andn2_b64 exec, exec, s[2:3]
	s_cbranch_execnz .LBB19_21
; %bb.22:
	s_or_b64 exec, exec, s[2:3]
.LBB19_23:
	v_add_u32_e32 v0, v3, v2
	v_mov_b32_e32 v1, 0
	v_lshl_add_u64 v[2:3], v[0:1], 2, s[10:11]
	v_lshl_add_u64 v[0:1], s[14:15], 0, v[0:1]
	s_mov_b64 s[2:3], -1
	s_waitcnt vmcnt(0)
	global_store_dword v[2:3], v5, off
.LBB19_24:
	s_and_b64 exec, exec, s[2:3]
	s_cbranch_execz .LBB19_26
; %bb.25:
	s_waitcnt vmcnt(1)
	global_store_byte v[0:1], v4, off
.LBB19_26:
	s_endpgm
	.section	.rodata,"a",@progbits
	.p2align	6, 0x0
	.amdhsa_kernel _ZN7rocprim17ROCPRIM_304000_NS6detail33device_block_merge_oddeven_kernelINS1_37wrapped_merge_sort_block_merge_configINS0_14default_configEiN2at4cuda3cub6detail10OpaqueTypeILi1EEEEEPiSC_PSA_SD_jNS1_19radix_merge_compareILb0ELb0EiNS0_19identity_decomposerEEEEEvT0_T1_T2_T3_T4_SL_T5_
		.amdhsa_group_segment_fixed_size 0
		.amdhsa_private_segment_fixed_size 0
		.amdhsa_kernarg_size 44
		.amdhsa_user_sgpr_count 2
		.amdhsa_user_sgpr_dispatch_ptr 0
		.amdhsa_user_sgpr_queue_ptr 0
		.amdhsa_user_sgpr_kernarg_segment_ptr 1
		.amdhsa_user_sgpr_dispatch_id 0
		.amdhsa_user_sgpr_kernarg_preload_length 0
		.amdhsa_user_sgpr_kernarg_preload_offset 0
		.amdhsa_user_sgpr_private_segment_size 0
		.amdhsa_uses_dynamic_stack 0
		.amdhsa_enable_private_segment 0
		.amdhsa_system_sgpr_workgroup_id_x 1
		.amdhsa_system_sgpr_workgroup_id_y 0
		.amdhsa_system_sgpr_workgroup_id_z 0
		.amdhsa_system_sgpr_workgroup_info 0
		.amdhsa_system_vgpr_workitem_id 0
		.amdhsa_next_free_vgpr 10
		.amdhsa_next_free_sgpr 22
		.amdhsa_accum_offset 12
		.amdhsa_reserve_vcc 1
		.amdhsa_float_round_mode_32 0
		.amdhsa_float_round_mode_16_64 0
		.amdhsa_float_denorm_mode_32 3
		.amdhsa_float_denorm_mode_16_64 3
		.amdhsa_dx10_clamp 1
		.amdhsa_ieee_mode 1
		.amdhsa_fp16_overflow 0
		.amdhsa_tg_split 0
		.amdhsa_exception_fp_ieee_invalid_op 0
		.amdhsa_exception_fp_denorm_src 0
		.amdhsa_exception_fp_ieee_div_zero 0
		.amdhsa_exception_fp_ieee_overflow 0
		.amdhsa_exception_fp_ieee_underflow 0
		.amdhsa_exception_fp_ieee_inexact 0
		.amdhsa_exception_int_div_zero 0
	.end_amdhsa_kernel
	.section	.text._ZN7rocprim17ROCPRIM_304000_NS6detail33device_block_merge_oddeven_kernelINS1_37wrapped_merge_sort_block_merge_configINS0_14default_configEiN2at4cuda3cub6detail10OpaqueTypeILi1EEEEEPiSC_PSA_SD_jNS1_19radix_merge_compareILb0ELb0EiNS0_19identity_decomposerEEEEEvT0_T1_T2_T3_T4_SL_T5_,"axG",@progbits,_ZN7rocprim17ROCPRIM_304000_NS6detail33device_block_merge_oddeven_kernelINS1_37wrapped_merge_sort_block_merge_configINS0_14default_configEiN2at4cuda3cub6detail10OpaqueTypeILi1EEEEEPiSC_PSA_SD_jNS1_19radix_merge_compareILb0ELb0EiNS0_19identity_decomposerEEEEEvT0_T1_T2_T3_T4_SL_T5_,comdat
.Lfunc_end19:
	.size	_ZN7rocprim17ROCPRIM_304000_NS6detail33device_block_merge_oddeven_kernelINS1_37wrapped_merge_sort_block_merge_configINS0_14default_configEiN2at4cuda3cub6detail10OpaqueTypeILi1EEEEEPiSC_PSA_SD_jNS1_19radix_merge_compareILb0ELb0EiNS0_19identity_decomposerEEEEEvT0_T1_T2_T3_T4_SL_T5_, .Lfunc_end19-_ZN7rocprim17ROCPRIM_304000_NS6detail33device_block_merge_oddeven_kernelINS1_37wrapped_merge_sort_block_merge_configINS0_14default_configEiN2at4cuda3cub6detail10OpaqueTypeILi1EEEEEPiSC_PSA_SD_jNS1_19radix_merge_compareILb0ELb0EiNS0_19identity_decomposerEEEEEvT0_T1_T2_T3_T4_SL_T5_
                                        ; -- End function
	.section	.AMDGPU.csdata,"",@progbits
; Kernel info:
; codeLenInByte = 752
; NumSgprs: 28
; NumVgprs: 10
; NumAgprs: 0
; TotalNumVgprs: 10
; ScratchSize: 0
; MemoryBound: 0
; FloatMode: 240
; IeeeMode: 1
; LDSByteSize: 0 bytes/workgroup (compile time only)
; SGPRBlocks: 3
; VGPRBlocks: 1
; NumSGPRsForWavesPerEU: 28
; NumVGPRsForWavesPerEU: 10
; AccumOffset: 12
; Occupancy: 8
; WaveLimiterHint : 0
; COMPUTE_PGM_RSRC2:SCRATCH_EN: 0
; COMPUTE_PGM_RSRC2:USER_SGPR: 2
; COMPUTE_PGM_RSRC2:TRAP_HANDLER: 0
; COMPUTE_PGM_RSRC2:TGID_X_EN: 1
; COMPUTE_PGM_RSRC2:TGID_Y_EN: 0
; COMPUTE_PGM_RSRC2:TGID_Z_EN: 0
; COMPUTE_PGM_RSRC2:TIDIG_COMP_CNT: 0
; COMPUTE_PGM_RSRC3_GFX90A:ACCUM_OFFSET: 2
; COMPUTE_PGM_RSRC3_GFX90A:TG_SPLIT: 0
	.section	.text._ZN7rocprim17ROCPRIM_304000_NS6detail45device_block_merge_mergepath_partition_kernelINS1_37wrapped_merge_sort_block_merge_configINS0_14default_configEiN2at4cuda3cub6detail10OpaqueTypeILi1EEEEEPijNS1_19radix_merge_compareILb0ELb1EiNS0_19identity_decomposerEEEEEvT0_T1_jPSH_T2_SH_,"axG",@progbits,_ZN7rocprim17ROCPRIM_304000_NS6detail45device_block_merge_mergepath_partition_kernelINS1_37wrapped_merge_sort_block_merge_configINS0_14default_configEiN2at4cuda3cub6detail10OpaqueTypeILi1EEEEEPijNS1_19radix_merge_compareILb0ELb1EiNS0_19identity_decomposerEEEEEvT0_T1_jPSH_T2_SH_,comdat
	.protected	_ZN7rocprim17ROCPRIM_304000_NS6detail45device_block_merge_mergepath_partition_kernelINS1_37wrapped_merge_sort_block_merge_configINS0_14default_configEiN2at4cuda3cub6detail10OpaqueTypeILi1EEEEEPijNS1_19radix_merge_compareILb0ELb1EiNS0_19identity_decomposerEEEEEvT0_T1_jPSH_T2_SH_ ; -- Begin function _ZN7rocprim17ROCPRIM_304000_NS6detail45device_block_merge_mergepath_partition_kernelINS1_37wrapped_merge_sort_block_merge_configINS0_14default_configEiN2at4cuda3cub6detail10OpaqueTypeILi1EEEEEPijNS1_19radix_merge_compareILb0ELb1EiNS0_19identity_decomposerEEEEEvT0_T1_jPSH_T2_SH_
	.globl	_ZN7rocprim17ROCPRIM_304000_NS6detail45device_block_merge_mergepath_partition_kernelINS1_37wrapped_merge_sort_block_merge_configINS0_14default_configEiN2at4cuda3cub6detail10OpaqueTypeILi1EEEEEPijNS1_19radix_merge_compareILb0ELb1EiNS0_19identity_decomposerEEEEEvT0_T1_jPSH_T2_SH_
	.p2align	8
	.type	_ZN7rocprim17ROCPRIM_304000_NS6detail45device_block_merge_mergepath_partition_kernelINS1_37wrapped_merge_sort_block_merge_configINS0_14default_configEiN2at4cuda3cub6detail10OpaqueTypeILi1EEEEEPijNS1_19radix_merge_compareILb0ELb1EiNS0_19identity_decomposerEEEEEvT0_T1_jPSH_T2_SH_,@function
_ZN7rocprim17ROCPRIM_304000_NS6detail45device_block_merge_mergepath_partition_kernelINS1_37wrapped_merge_sort_block_merge_configINS0_14default_configEiN2at4cuda3cub6detail10OpaqueTypeILi1EEEEEPijNS1_19radix_merge_compareILb0ELb1EiNS0_19identity_decomposerEEEEEvT0_T1_jPSH_T2_SH_: ; @_ZN7rocprim17ROCPRIM_304000_NS6detail45device_block_merge_mergepath_partition_kernelINS1_37wrapped_merge_sort_block_merge_configINS0_14default_configEiN2at4cuda3cub6detail10OpaqueTypeILi1EEEEEPijNS1_19radix_merge_compareILb0ELb1EiNS0_19identity_decomposerEEEEEvT0_T1_jPSH_T2_SH_
; %bb.0:
	s_load_dwordx2 s[4:5], s[0:1], 0x8
	v_lshl_or_b32 v0, s2, 7, v0
	s_waitcnt lgkmcnt(0)
	v_cmp_gt_u32_e32 vcc, s5, v0
	s_and_saveexec_b64 s[2:3], vcc
	s_cbranch_execz .LBB20_6
; %bb.1:
	s_load_dwordx2 s[2:3], s[0:1], 0x18
	s_waitcnt lgkmcnt(0)
	s_lshr_b32 s5, s3, 9
	s_and_b32 s5, s5, 0x7ffffe
	s_add_i32 s6, s5, -1
	s_sub_i32 s5, 0, s5
	v_and_b32_e32 v1, s5, v0
	v_and_b32_e32 v2, s6, v0
	v_lshlrev_b32_e32 v1, 10, v1
	v_lshlrev_b32_e32 v3, 10, v2
	v_min_u32_e32 v2, s4, v1
	v_add_u32_e32 v1, s3, v1
	v_min_u32_e32 v4, s4, v1
	v_add_u32_e32 v1, s3, v4
	v_min_u32_e32 v1, s4, v1
	v_sub_u32_e32 v5, v1, v2
	v_min_u32_e32 v10, v5, v3
	v_sub_u32_e32 v3, v4, v2
	v_sub_u32_e32 v1, v1, v4
	v_sub_u32_e64 v1, v10, v1 clamp
	v_min_u32_e32 v11, v10, v3
	v_cmp_lt_u32_e32 vcc, v1, v11
	s_and_saveexec_b64 s[4:5], vcc
	s_cbranch_execz .LBB20_5
; %bb.2:
	s_load_dwordx2 s[6:7], s[0:1], 0x0
	v_mov_b32_e32 v5, 0
	v_mov_b32_e32 v3, v5
	s_waitcnt lgkmcnt(0)
	v_lshl_add_u64 v[6:7], v[2:3], 2, s[6:7]
	v_lshl_add_u64 v[8:9], v[4:5], 2, s[6:7]
	s_mov_b64 s[6:7], 0
.LBB20_3:                               ; =>This Inner Loop Header: Depth=1
	v_add_u32_e32 v3, v11, v1
	v_lshrrev_b32_e32 v4, 1, v3
	v_mov_b32_e32 v13, v5
	v_xad_u32 v12, v4, -1, v10
	v_lshl_add_u64 v[14:15], v[4:5], 2, v[6:7]
	v_lshl_add_u64 v[12:13], v[12:13], 2, v[8:9]
	global_load_dword v3, v[14:15], off
	global_load_dword v16, v[12:13], off
	v_add_u32_e32 v12, 1, v4
	s_waitcnt vmcnt(1)
	v_and_b32_e32 v3, s2, v3
	s_waitcnt vmcnt(0)
	v_and_b32_e32 v13, s2, v16
	v_cmp_gt_i32_e32 vcc, v3, v13
	s_nop 1
	v_cndmask_b32_e32 v11, v11, v4, vcc
	v_cndmask_b32_e32 v1, v12, v1, vcc
	v_cmp_ge_u32_e32 vcc, v1, v11
	s_or_b64 s[6:7], vcc, s[6:7]
	s_andn2_b64 exec, exec, s[6:7]
	s_cbranch_execnz .LBB20_3
; %bb.4:
	s_or_b64 exec, exec, s[6:7]
.LBB20_5:
	s_or_b64 exec, exec, s[4:5]
	s_load_dwordx2 s[0:1], s[0:1], 0x10
	v_add_u32_e32 v2, v1, v2
	v_mov_b32_e32 v1, 0
	s_waitcnt lgkmcnt(0)
	v_lshl_add_u64 v[0:1], v[0:1], 2, s[0:1]
	global_store_dword v[0:1], v2, off
.LBB20_6:
	s_endpgm
	.section	.rodata,"a",@progbits
	.p2align	6, 0x0
	.amdhsa_kernel _ZN7rocprim17ROCPRIM_304000_NS6detail45device_block_merge_mergepath_partition_kernelINS1_37wrapped_merge_sort_block_merge_configINS0_14default_configEiN2at4cuda3cub6detail10OpaqueTypeILi1EEEEEPijNS1_19radix_merge_compareILb0ELb1EiNS0_19identity_decomposerEEEEEvT0_T1_jPSH_T2_SH_
		.amdhsa_group_segment_fixed_size 0
		.amdhsa_private_segment_fixed_size 0
		.amdhsa_kernarg_size 32
		.amdhsa_user_sgpr_count 2
		.amdhsa_user_sgpr_dispatch_ptr 0
		.amdhsa_user_sgpr_queue_ptr 0
		.amdhsa_user_sgpr_kernarg_segment_ptr 1
		.amdhsa_user_sgpr_dispatch_id 0
		.amdhsa_user_sgpr_kernarg_preload_length 0
		.amdhsa_user_sgpr_kernarg_preload_offset 0
		.amdhsa_user_sgpr_private_segment_size 0
		.amdhsa_uses_dynamic_stack 0
		.amdhsa_enable_private_segment 0
		.amdhsa_system_sgpr_workgroup_id_x 1
		.amdhsa_system_sgpr_workgroup_id_y 0
		.amdhsa_system_sgpr_workgroup_id_z 0
		.amdhsa_system_sgpr_workgroup_info 0
		.amdhsa_system_vgpr_workitem_id 0
		.amdhsa_next_free_vgpr 17
		.amdhsa_next_free_sgpr 8
		.amdhsa_accum_offset 20
		.amdhsa_reserve_vcc 1
		.amdhsa_float_round_mode_32 0
		.amdhsa_float_round_mode_16_64 0
		.amdhsa_float_denorm_mode_32 3
		.amdhsa_float_denorm_mode_16_64 3
		.amdhsa_dx10_clamp 1
		.amdhsa_ieee_mode 1
		.amdhsa_fp16_overflow 0
		.amdhsa_tg_split 0
		.amdhsa_exception_fp_ieee_invalid_op 0
		.amdhsa_exception_fp_denorm_src 0
		.amdhsa_exception_fp_ieee_div_zero 0
		.amdhsa_exception_fp_ieee_overflow 0
		.amdhsa_exception_fp_ieee_underflow 0
		.amdhsa_exception_fp_ieee_inexact 0
		.amdhsa_exception_int_div_zero 0
	.end_amdhsa_kernel
	.section	.text._ZN7rocprim17ROCPRIM_304000_NS6detail45device_block_merge_mergepath_partition_kernelINS1_37wrapped_merge_sort_block_merge_configINS0_14default_configEiN2at4cuda3cub6detail10OpaqueTypeILi1EEEEEPijNS1_19radix_merge_compareILb0ELb1EiNS0_19identity_decomposerEEEEEvT0_T1_jPSH_T2_SH_,"axG",@progbits,_ZN7rocprim17ROCPRIM_304000_NS6detail45device_block_merge_mergepath_partition_kernelINS1_37wrapped_merge_sort_block_merge_configINS0_14default_configEiN2at4cuda3cub6detail10OpaqueTypeILi1EEEEEPijNS1_19radix_merge_compareILb0ELb1EiNS0_19identity_decomposerEEEEEvT0_T1_jPSH_T2_SH_,comdat
.Lfunc_end20:
	.size	_ZN7rocprim17ROCPRIM_304000_NS6detail45device_block_merge_mergepath_partition_kernelINS1_37wrapped_merge_sort_block_merge_configINS0_14default_configEiN2at4cuda3cub6detail10OpaqueTypeILi1EEEEEPijNS1_19radix_merge_compareILb0ELb1EiNS0_19identity_decomposerEEEEEvT0_T1_jPSH_T2_SH_, .Lfunc_end20-_ZN7rocprim17ROCPRIM_304000_NS6detail45device_block_merge_mergepath_partition_kernelINS1_37wrapped_merge_sort_block_merge_configINS0_14default_configEiN2at4cuda3cub6detail10OpaqueTypeILi1EEEEEPijNS1_19radix_merge_compareILb0ELb1EiNS0_19identity_decomposerEEEEEvT0_T1_jPSH_T2_SH_
                                        ; -- End function
	.section	.AMDGPU.csdata,"",@progbits
; Kernel info:
; codeLenInByte = 332
; NumSgprs: 14
; NumVgprs: 17
; NumAgprs: 0
; TotalNumVgprs: 17
; ScratchSize: 0
; MemoryBound: 0
; FloatMode: 240
; IeeeMode: 1
; LDSByteSize: 0 bytes/workgroup (compile time only)
; SGPRBlocks: 1
; VGPRBlocks: 2
; NumSGPRsForWavesPerEU: 14
; NumVGPRsForWavesPerEU: 17
; AccumOffset: 20
; Occupancy: 8
; WaveLimiterHint : 0
; COMPUTE_PGM_RSRC2:SCRATCH_EN: 0
; COMPUTE_PGM_RSRC2:USER_SGPR: 2
; COMPUTE_PGM_RSRC2:TRAP_HANDLER: 0
; COMPUTE_PGM_RSRC2:TGID_X_EN: 1
; COMPUTE_PGM_RSRC2:TGID_Y_EN: 0
; COMPUTE_PGM_RSRC2:TGID_Z_EN: 0
; COMPUTE_PGM_RSRC2:TIDIG_COMP_CNT: 0
; COMPUTE_PGM_RSRC3_GFX90A:ACCUM_OFFSET: 4
; COMPUTE_PGM_RSRC3_GFX90A:TG_SPLIT: 0
	.section	.text._ZN7rocprim17ROCPRIM_304000_NS6detail35device_block_merge_mergepath_kernelINS1_37wrapped_merge_sort_block_merge_configINS0_14default_configEiN2at4cuda3cub6detail10OpaqueTypeILi1EEEEEPiSC_PSA_SD_jNS1_19radix_merge_compareILb0ELb1EiNS0_19identity_decomposerEEEEEvT0_T1_T2_T3_T4_SL_jT5_PKSL_NS1_7vsmem_tE,"axG",@progbits,_ZN7rocprim17ROCPRIM_304000_NS6detail35device_block_merge_mergepath_kernelINS1_37wrapped_merge_sort_block_merge_configINS0_14default_configEiN2at4cuda3cub6detail10OpaqueTypeILi1EEEEEPiSC_PSA_SD_jNS1_19radix_merge_compareILb0ELb1EiNS0_19identity_decomposerEEEEEvT0_T1_T2_T3_T4_SL_jT5_PKSL_NS1_7vsmem_tE,comdat
	.protected	_ZN7rocprim17ROCPRIM_304000_NS6detail35device_block_merge_mergepath_kernelINS1_37wrapped_merge_sort_block_merge_configINS0_14default_configEiN2at4cuda3cub6detail10OpaqueTypeILi1EEEEEPiSC_PSA_SD_jNS1_19radix_merge_compareILb0ELb1EiNS0_19identity_decomposerEEEEEvT0_T1_T2_T3_T4_SL_jT5_PKSL_NS1_7vsmem_tE ; -- Begin function _ZN7rocprim17ROCPRIM_304000_NS6detail35device_block_merge_mergepath_kernelINS1_37wrapped_merge_sort_block_merge_configINS0_14default_configEiN2at4cuda3cub6detail10OpaqueTypeILi1EEEEEPiSC_PSA_SD_jNS1_19radix_merge_compareILb0ELb1EiNS0_19identity_decomposerEEEEEvT0_T1_T2_T3_T4_SL_jT5_PKSL_NS1_7vsmem_tE
	.globl	_ZN7rocprim17ROCPRIM_304000_NS6detail35device_block_merge_mergepath_kernelINS1_37wrapped_merge_sort_block_merge_configINS0_14default_configEiN2at4cuda3cub6detail10OpaqueTypeILi1EEEEEPiSC_PSA_SD_jNS1_19radix_merge_compareILb0ELb1EiNS0_19identity_decomposerEEEEEvT0_T1_T2_T3_T4_SL_jT5_PKSL_NS1_7vsmem_tE
	.p2align	8
	.type	_ZN7rocprim17ROCPRIM_304000_NS6detail35device_block_merge_mergepath_kernelINS1_37wrapped_merge_sort_block_merge_configINS0_14default_configEiN2at4cuda3cub6detail10OpaqueTypeILi1EEEEEPiSC_PSA_SD_jNS1_19radix_merge_compareILb0ELb1EiNS0_19identity_decomposerEEEEEvT0_T1_T2_T3_T4_SL_jT5_PKSL_NS1_7vsmem_tE,@function
_ZN7rocprim17ROCPRIM_304000_NS6detail35device_block_merge_mergepath_kernelINS1_37wrapped_merge_sort_block_merge_configINS0_14default_configEiN2at4cuda3cub6detail10OpaqueTypeILi1EEEEEPiSC_PSA_SD_jNS1_19radix_merge_compareILb0ELb1EiNS0_19identity_decomposerEEEEEvT0_T1_T2_T3_T4_SL_jT5_PKSL_NS1_7vsmem_tE: ; @_ZN7rocprim17ROCPRIM_304000_NS6detail35device_block_merge_mergepath_kernelINS1_37wrapped_merge_sort_block_merge_configINS0_14default_configEiN2at4cuda3cub6detail10OpaqueTypeILi1EEEEEPiSC_PSA_SD_jNS1_19radix_merge_compareILb0ELb1EiNS0_19identity_decomposerEEEEEvT0_T1_T2_T3_T4_SL_jT5_PKSL_NS1_7vsmem_tE
; %bb.0:
	s_load_dwordx2 s[10:11], s[0:1], 0x40
	s_load_dwordx4 s[20:23], s[0:1], 0x20
	s_add_u32 s8, s0, 64
	s_addc_u32 s9, s1, 0
	s_waitcnt lgkmcnt(0)
	s_mul_i32 s4, s11, s4
	s_add_i32 s3, s4, s3
	s_mul_i32 s3, s3, s10
	s_add_i32 s6, s3, s2
	s_cmp_ge_u32 s6, s22
	s_cbranch_scc1 .LBB21_105
; %bb.1:
	s_load_dwordx8 s[12:19], s[0:1], 0x0
	s_load_dwordx2 s[4:5], s[0:1], 0x30
	s_lshr_b32 s11, s20, 10
	s_cmp_lg_u32 s6, s11
	s_mov_b32 s7, 0
	s_cselect_b64 s[24:25], -1, 0
	s_lshl_b64 s[0:1], s[6:7], 2
	s_waitcnt lgkmcnt(0)
	s_add_u32 s0, s4, s0
	s_addc_u32 s1, s5, s1
	s_load_dwordx2 s[26:27], s[0:1], 0x0
	s_lshr_b32 s0, s21, 9
	s_and_b32 s0, s0, 0x7ffffe
	s_sub_i32 s0, 0, s0
	s_and_b32 s1, s6, s0
	s_lshl_b32 s3, s1, 10
	s_lshl_b32 s22, s6, 10
	;; [unrolled: 1-line block ×3, first 2 shown]
	s_sub_i32 s4, s22, s3
	s_add_i32 s1, s1, s21
	s_add_i32 s4, s1, s4
	s_waitcnt lgkmcnt(0)
	s_sub_i32 s5, s4, s26
	s_sub_i32 s4, s4, s27
	;; [unrolled: 1-line block ×3, first 2 shown]
	s_min_u32 s28, s20, s5
	s_addk_i32 s4, 0x400
	s_or_b32 s0, s6, s0
	s_min_u32 s3, s20, s1
	s_add_i32 s1, s1, s21
	s_cmp_eq_u32 s0, -1
	s_cselect_b32 s0, s1, s4
	s_cselect_b32 s1, s3, s27
	s_min_u32 s0, s0, s20
	s_mov_b32 s27, s7
	s_sub_i32 s33, s1, s26
	s_sub_i32 s34, s0, s28
	s_lshl_b64 s[0:1], s[26:27], 2
	s_add_u32 s0, s12, s0
	s_mov_b32 s29, s7
	s_addc_u32 s1, s13, s1
	s_lshl_b64 s[4:5], s[28:29], 2
	s_add_u32 s4, s12, s4
	s_addc_u32 s5, s13, s5
	s_cmp_lt_u32 s2, s10
	v_mov_b32_e32 v11, 0
	s_cselect_b32 s2, 12, 18
	global_load_dword v1, v11, s[8:9] offset:14
	s_add_u32 s2, s8, s2
	s_addc_u32 s3, s9, 0
	global_load_ushort v2, v11, s[2:3]
	v_cmp_gt_u32_e32 vcc, s33, v0
	s_cmp_eq_u32 s6, s11
	v_lshlrev_b32_e32 v10, 2, v0
	s_waitcnt vmcnt(1)
	v_lshrrev_b32_e32 v3, 16, v1
	v_and_b32_e32 v1, 0xffff, v1
	v_mul_lo_u32 v1, v1, v3
	s_waitcnt vmcnt(0)
	v_mul_lo_u32 v1, v1, v2
	v_add_u32_e32 v14, v1, v0
	v_add_u32_e32 v12, v14, v1
	s_cbranch_scc1 .LBB21_3
; %bb.2:
	v_subrev_u32_e32 v4, s33, v0
	v_mov_b32_e32 v5, v11
	v_lshl_add_u64 v[2:3], s[0:1], 0, v[10:11]
	v_lshl_add_u64 v[4:5], v[4:5], 2, s[4:5]
	v_mov_b32_e32 v15, v11
	v_subrev_u32_e32 v6, s33, v14
	v_mov_b32_e32 v7, v11
	v_cndmask_b32_e32 v3, v5, v3, vcc
	v_cndmask_b32_e32 v2, v4, v2, vcc
	v_lshl_add_u64 v[4:5], v[14:15], 2, s[0:1]
	v_lshl_add_u64 v[6:7], v[6:7], 2, s[4:5]
	v_cmp_gt_u32_e32 vcc, s33, v14
	v_mov_b32_e32 v13, v11
	global_load_dword v2, v[2:3], off
	v_cndmask_b32_e32 v5, v7, v5, vcc
	v_cndmask_b32_e32 v4, v6, v4, vcc
	v_subrev_u32_e32 v6, s33, v12
	v_mov_b32_e32 v7, v11
	global_load_dword v3, v[4:5], off
	v_lshl_add_u64 v[4:5], v[12:13], 2, s[0:1]
	v_lshl_add_u64 v[6:7], v[6:7], 2, s[4:5]
	v_cmp_gt_u32_e32 vcc, s33, v12
	v_mov_b32_e32 v17, v11
	v_mov_b32_e32 v19, v11
	v_cndmask_b32_e32 v4, v6, v4, vcc
	v_add_u32_e32 v6, v12, v1
	v_cndmask_b32_e32 v5, v7, v5, vcc
	v_mov_b32_e32 v7, v11
	v_subrev_u32_e32 v16, s33, v6
	v_lshl_add_u64 v[8:9], v[6:7], 2, s[0:1]
	v_lshl_add_u64 v[16:17], v[16:17], 2, s[4:5]
	v_cmp_gt_u32_e32 vcc, s33, v6
	global_load_dword v4, v[4:5], off
	v_mov_b32_e32 v21, v11
	v_cndmask_b32_e32 v9, v17, v9, vcc
	v_cndmask_b32_e32 v8, v16, v8, vcc
	global_load_dword v5, v[8:9], off
	v_add_u32_e32 v8, v6, v1
	v_mov_b32_e32 v9, v11
	v_lshl_add_u64 v[6:7], v[8:9], 2, s[0:1]
	v_subrev_u32_e32 v16, s33, v8
	v_mov_b32_e32 v17, v11
	v_cmp_gt_u32_e32 vcc, s33, v8
	v_add_u32_e32 v8, v8, v1
	v_lshl_add_u64 v[16:17], v[16:17], 2, s[4:5]
	v_subrev_u32_e32 v18, s33, v8
	v_cndmask_b32_e32 v7, v17, v7, vcc
	v_cndmask_b32_e32 v6, v16, v6, vcc
	v_lshl_add_u64 v[16:17], v[8:9], 2, s[0:1]
	v_lshl_add_u64 v[18:19], v[18:19], 2, s[4:5]
	v_cmp_gt_u32_e32 vcc, s33, v8
	global_load_dword v6, v[6:7], off
	s_add_i32 s21, s34, s33
	v_cndmask_b32_e32 v17, v19, v17, vcc
	v_cndmask_b32_e32 v16, v18, v16, vcc
	global_load_dword v7, v[16:17], off
	v_add_u32_e32 v16, v8, v1
	v_mov_b32_e32 v17, v11
	v_lshl_add_u64 v[8:9], v[16:17], 2, s[0:1]
	v_subrev_u32_e32 v18, s33, v16
	v_mov_b32_e32 v19, v11
	v_cmp_gt_u32_e32 vcc, s33, v16
	v_add_u32_e32 v16, v16, v1
	v_lshl_add_u64 v[18:19], v[18:19], 2, s[4:5]
	v_subrev_u32_e32 v20, s33, v16
	v_cndmask_b32_e32 v9, v19, v9, vcc
	v_cndmask_b32_e32 v8, v18, v8, vcc
	v_lshl_add_u64 v[18:19], v[16:17], 2, s[0:1]
	v_lshl_add_u64 v[20:21], v[20:21], 2, s[4:5]
	v_cmp_gt_u32_e32 vcc, s33, v16
	global_load_dword v8, v[8:9], off
	s_nop 0
	v_cndmask_b32_e32 v17, v21, v19, vcc
	v_cndmask_b32_e32 v16, v20, v18, vcc
	global_load_dword v9, v[16:17], off
	s_cbranch_execz .LBB21_4
	s_branch .LBB21_19
.LBB21_3:
                                        ; implicit-def: $vgpr2_vgpr3_vgpr4_vgpr5_vgpr6_vgpr7_vgpr8_vgpr9
                                        ; implicit-def: $sgpr21
.LBB21_4:
	s_add_i32 s21, s34, s33
	v_cmp_gt_u32_e32 vcc, s21, v0
                                        ; implicit-def: $vgpr2_vgpr3_vgpr4_vgpr5_vgpr6_vgpr7_vgpr8_vgpr9
	s_and_saveexec_b64 s[2:3], vcc
	s_cbranch_execnz .LBB21_106
; %bb.5:
	s_or_b64 exec, exec, s[2:3]
	v_cmp_gt_u32_e32 vcc, s21, v14
	s_and_saveexec_b64 s[2:3], vcc
	s_cbranch_execnz .LBB21_107
.LBB21_6:
	s_or_b64 exec, exec, s[2:3]
	v_cmp_gt_u32_e32 vcc, s21, v12
	s_and_saveexec_b64 s[2:3], vcc
	s_cbranch_execz .LBB21_8
.LBB21_7:
	v_mov_b32_e32 v13, 0
	v_subrev_u32_e32 v16, s33, v12
	v_mov_b32_e32 v17, v13
	v_lshl_add_u64 v[14:15], v[12:13], 2, s[0:1]
	v_lshl_add_u64 v[16:17], v[16:17], 2, s[4:5]
	v_cmp_gt_u32_e32 vcc, s33, v12
	s_nop 1
	v_cndmask_b32_e32 v15, v17, v15, vcc
	v_cndmask_b32_e32 v14, v16, v14, vcc
	global_load_dword v4, v[14:15], off
.LBB21_8:
	s_or_b64 exec, exec, s[2:3]
	v_add_u32_e32 v12, v12, v1
	v_cmp_gt_u32_e32 vcc, s21, v12
	s_and_saveexec_b64 s[2:3], vcc
	s_cbranch_execz .LBB21_10
; %bb.9:
	v_mov_b32_e32 v13, 0
	v_subrev_u32_e32 v16, s33, v12
	v_mov_b32_e32 v17, v13
	v_lshl_add_u64 v[14:15], v[12:13], 2, s[0:1]
	v_lshl_add_u64 v[16:17], v[16:17], 2, s[4:5]
	v_cmp_gt_u32_e32 vcc, s33, v12
	s_nop 1
	v_cndmask_b32_e32 v15, v17, v15, vcc
	v_cndmask_b32_e32 v14, v16, v14, vcc
	global_load_dword v5, v[14:15], off
.LBB21_10:
	s_or_b64 exec, exec, s[2:3]
	v_add_u32_e32 v12, v12, v1
	v_cmp_gt_u32_e32 vcc, s21, v12
	s_and_saveexec_b64 s[2:3], vcc
	s_cbranch_execz .LBB21_12
; %bb.11:
	v_mov_b32_e32 v13, 0
	v_subrev_u32_e32 v16, s33, v12
	v_mov_b32_e32 v17, v13
	v_lshl_add_u64 v[14:15], v[12:13], 2, s[0:1]
	v_lshl_add_u64 v[16:17], v[16:17], 2, s[4:5]
	v_cmp_gt_u32_e32 vcc, s33, v12
	s_nop 1
	v_cndmask_b32_e32 v15, v17, v15, vcc
	v_cndmask_b32_e32 v14, v16, v14, vcc
	global_load_dword v6, v[14:15], off
.LBB21_12:
	;; [unrolled: 17-line block ×4, first 2 shown]
	s_or_b64 exec, exec, s[2:3]
	v_add_u32_e32 v12, v12, v1
	v_cmp_gt_u32_e32 vcc, s21, v12
	s_and_saveexec_b64 s[2:3], vcc
	s_cbranch_execz .LBB21_18
; %bb.17:
	v_mov_b32_e32 v13, 0
	v_lshl_add_u64 v[14:15], v[12:13], 2, s[0:1]
	v_cmp_gt_u32_e32 vcc, s33, v12
	v_subrev_u32_e32 v12, s33, v12
	v_lshl_add_u64 v[12:13], v[12:13], 2, s[4:5]
	v_cndmask_b32_e32 v13, v13, v15, vcc
	v_cndmask_b32_e32 v12, v12, v14, vcc
	global_load_dword v9, v[12:13], off
.LBB21_18:
	s_or_b64 exec, exec, s[2:3]
.LBB21_19:
	v_lshlrev_b32_e32 v11, 3, v0
	v_min_u32_e32 v1, s21, v11
	v_sub_u32_e64 v12, v1, s34 clamp
	v_min_u32_e32 v13, s33, v1
	v_cmp_lt_u32_e32 vcc, v12, v13
	s_waitcnt vmcnt(0)
	ds_write2st64_b32 v10, v2, v3 offset1:2
	ds_write2st64_b32 v10, v4, v5 offset0:4 offset1:6
	ds_write2st64_b32 v10, v6, v7 offset0:8 offset1:10
	;; [unrolled: 1-line block ×3, first 2 shown]
	s_waitcnt lgkmcnt(0)
	s_barrier
	s_and_saveexec_b64 s[0:1], vcc
	s_cbranch_execz .LBB21_23
; %bb.20:
	v_lshlrev_b32_e32 v14, 2, v1
	v_lshl_add_u32 v14, s33, 2, v14
	s_mov_b64 s[2:3], 0
.LBB21_21:                              ; =>This Inner Loop Header: Depth=1
	v_add_u32_e32 v15, v13, v12
	v_lshrrev_b32_e32 v15, 1, v15
	v_not_b32_e32 v16, v15
	v_lshlrev_b32_e32 v17, 2, v15
	v_lshl_add_u32 v16, v16, 2, v14
	ds_read_b32 v17, v17
	ds_read_b32 v16, v16
	v_add_u32_e32 v18, 1, v15
	s_waitcnt lgkmcnt(1)
	v_and_b32_e32 v17, s23, v17
	s_waitcnt lgkmcnt(0)
	v_and_b32_e32 v16, s23, v16
	v_cmp_gt_i32_e32 vcc, v17, v16
	s_nop 1
	v_cndmask_b32_e32 v13, v13, v15, vcc
	v_cndmask_b32_e32 v12, v18, v12, vcc
	v_cmp_ge_u32_e32 vcc, v12, v13
	s_or_b64 s[2:3], vcc, s[2:3]
	s_andn2_b64 exec, exec, s[2:3]
	s_cbranch_execnz .LBB21_21
; %bb.22:
	s_or_b64 exec, exec, s[2:3]
.LBB21_23:
	s_or_b64 exec, exec, s[0:1]
	v_sub_u32_e32 v1, v1, v12
	v_add_u32_e32 v13, s33, v1
	v_cmp_ge_u32_e32 vcc, s33, v12
	v_cmp_ge_u32_e64 s[0:1], s21, v13
	s_or_b64 s[0:1], vcc, s[0:1]
                                        ; implicit-def: $vgpr22
                                        ; implicit-def: $vgpr25
                                        ; implicit-def: $vgpr24
                                        ; implicit-def: $vgpr23
                                        ; implicit-def: $vgpr21
                                        ; implicit-def: $vgpr20
                                        ; implicit-def: $vgpr19
                                        ; implicit-def: $vgpr18
	s_and_saveexec_b64 s[30:31], s[0:1]
	s_cbranch_execz .LBB21_29
; %bb.24:
	v_cmp_gt_u32_e32 vcc, s33, v12
                                        ; implicit-def: $vgpr1
	s_and_saveexec_b64 s[0:1], vcc
	s_cbranch_execz .LBB21_26
; %bb.25:
	v_lshlrev_b32_e32 v1, 2, v12
	ds_read_b32 v1, v1
.LBB21_26:
	s_or_b64 exec, exec, s[0:1]
	v_cmp_le_u32_e64 s[0:1], s21, v13
	v_cmp_gt_u32_e64 s[2:3], s21, v13
                                        ; implicit-def: $vgpr2
	s_and_saveexec_b64 s[4:5], s[2:3]
	s_cbranch_execz .LBB21_28
; %bb.27:
	v_lshlrev_b32_e32 v2, 2, v13
	ds_read_b32 v2, v2
.LBB21_28:
	s_or_b64 exec, exec, s[4:5]
	s_waitcnt lgkmcnt(0)
	v_and_b32_e32 v3, s23, v2
	v_and_b32_e32 v4, s23, v1
	v_cmp_le_i32_e64 s[2:3], v4, v3
	s_and_b64 s[2:3], vcc, s[2:3]
	s_or_b64 vcc, s[0:1], s[2:3]
	v_mov_b32_e32 v5, s21
	v_mov_b32_e32 v6, s33
	v_cndmask_b32_e32 v18, v13, v12, vcc
	v_cndmask_b32_e32 v3, v5, v6, vcc
	v_add_u32_e32 v4, 1, v18
	v_add_u32_e32 v3, -1, v3
	v_min_u32_e32 v3, v4, v3
	v_lshlrev_b32_e32 v3, 2, v3
	ds_read_b32 v3, v3
	v_cndmask_b32_e32 v8, v4, v13, vcc
	v_cndmask_b32_e32 v4, v12, v4, vcc
	v_cmp_gt_u32_e64 s[2:3], s33, v4
	v_cmp_le_u32_e64 s[0:1], s21, v8
	s_waitcnt lgkmcnt(0)
	v_cndmask_b32_e32 v7, v3, v2, vcc
	v_cndmask_b32_e32 v3, v1, v3, vcc
	v_and_b32_e32 v9, s23, v7
	v_and_b32_e32 v12, s23, v3
	v_cmp_le_i32_e64 s[4:5], v12, v9
	s_and_b64 s[2:3], s[2:3], s[4:5]
	s_or_b64 s[0:1], s[0:1], s[2:3]
	v_cndmask_b32_e64 v19, v8, v4, s[0:1]
	v_cndmask_b32_e64 v9, v5, v6, s[0:1]
	v_add_u32_e32 v12, 1, v19
	v_add_u32_e32 v9, -1, v9
	v_min_u32_e32 v9, v12, v9
	v_lshlrev_b32_e32 v9, 2, v9
	ds_read_b32 v9, v9
	v_cndmask_b32_e64 v8, v12, v8, s[0:1]
	v_cndmask_b32_e64 v4, v4, v12, s[0:1]
	v_cmp_gt_u32_e64 s[4:5], s33, v4
	v_cmp_le_u32_e64 s[2:3], s21, v8
	s_waitcnt lgkmcnt(0)
	v_cndmask_b32_e64 v13, v9, v7, s[0:1]
	v_cndmask_b32_e64 v9, v3, v9, s[0:1]
	v_and_b32_e32 v12, s23, v13
	v_and_b32_e32 v14, s23, v9
	v_cmp_le_i32_e64 s[6:7], v14, v12
	s_and_b64 s[4:5], s[4:5], s[6:7]
	s_or_b64 s[2:3], s[2:3], s[4:5]
	v_cndmask_b32_e64 v20, v8, v4, s[2:3]
	v_cndmask_b32_e64 v12, v5, v6, s[2:3]
	v_add_u32_e32 v14, 1, v20
	v_add_u32_e32 v12, -1, v12
	v_min_u32_e32 v12, v14, v12
	v_lshlrev_b32_e32 v12, 2, v12
	ds_read_b32 v12, v12
	v_cndmask_b32_e64 v8, v14, v8, s[2:3]
	v_cndmask_b32_e64 v4, v4, v14, s[2:3]
	v_cmp_gt_u32_e64 s[6:7], s33, v4
	v_cmp_le_u32_e64 s[4:5], s21, v8
	s_waitcnt lgkmcnt(0)
	v_cndmask_b32_e64 v15, v12, v13, s[2:3]
	v_cndmask_b32_e64 v12, v9, v12, s[2:3]
	;; [unrolled: 19-line block ×4, first 2 shown]
	v_and_b32_e32 v4, s23, v26
	v_and_b32_e32 v24, s23, v16
	v_cmp_le_i32_e64 s[12:13], v24, v4
	s_and_b64 s[10:11], s[10:11], s[12:13]
	s_or_b64 s[8:9], s[8:9], s[10:11]
	v_cndmask_b32_e64 v24, v8, v22, s[8:9]
	v_cndmask_b32_e64 v4, v5, v6, s[8:9]
	v_add_u32_e32 v25, 1, v24
	v_add_u32_e32 v4, -1, v4
	v_min_u32_e32 v4, v25, v4
	v_lshlrev_b32_e32 v4, 2, v4
	ds_read_b32 v27, v4
	v_cndmask_b32_e32 v2, v2, v1, vcc
	v_cndmask_b32_e64 v4, v13, v9, s[2:3]
	v_cndmask_b32_e64 v3, v7, v3, s[0:1]
	;; [unrolled: 1-line block ×3, first 2 shown]
	s_waitcnt lgkmcnt(0)
	v_cndmask_b32_e64 v1, v27, v26, s[8:9]
	v_cndmask_b32_e64 v9, v16, v27, s[8:9]
	v_cndmask_b32_e64 v22, v22, v25, s[8:9]
	v_and_b32_e32 v7, s23, v1
	v_and_b32_e32 v8, s23, v9
	v_cmp_gt_u32_e64 s[0:1], s33, v22
	v_cmp_le_i32_e64 s[2:3], v8, v7
	v_cmp_le_u32_e32 vcc, s21, v13
	s_and_b64 s[0:1], s[0:1], s[2:3]
	s_or_b64 vcc, vcc, s[0:1]
	v_cndmask_b32_e32 v25, v13, v22, vcc
	v_cndmask_b32_e32 v5, v5, v6, vcc
	v_add_u32_e32 v27, 1, v25
	v_add_u32_e32 v5, -1, v5
	v_min_u32_e32 v5, v27, v5
	v_lshlrev_b32_e32 v5, 2, v5
	ds_read_b32 v28, v5
	v_cndmask_b32_e32 v8, v1, v9, vcc
	v_cndmask_b32_e64 v5, v15, v12, s[4:5]
	v_cndmask_b32_e64 v6, v17, v14, s[6:7]
	v_cndmask_b32_e32 v12, v27, v13, vcc
	s_waitcnt lgkmcnt(0)
	v_cndmask_b32_e32 v1, v28, v1, vcc
	v_cndmask_b32_e32 v9, v9, v28, vcc
	;; [unrolled: 1-line block ×3, first 2 shown]
	v_and_b32_e32 v14, s23, v1
	v_and_b32_e32 v15, s23, v9
	v_cmp_gt_u32_e64 s[0:1], s33, v13
	v_cmp_le_i32_e64 s[2:3], v15, v14
	v_cmp_le_u32_e32 vcc, s21, v12
	s_and_b64 s[0:1], s[0:1], s[2:3]
	s_or_b64 vcc, vcc, s[0:1]
	v_cndmask_b32_e64 v7, v26, v16, s[8:9]
	v_cndmask_b32_e32 v22, v12, v13, vcc
	v_cndmask_b32_e32 v9, v1, v9, vcc
.LBB21_29:
	s_or_b64 exec, exec, s[30:31]
	s_add_u32 s8, s16, s26
	s_addc_u32 s9, s17, 0
	v_mov_b32_e32 v1, 0
	s_add_u32 s6, s16, s28
	v_cndmask_b32_e64 v12, 0, 1, s[24:25]
	s_addc_u32 s7, s17, 0
	v_cmp_gt_u32_e64 s[4:5], s33, v0
	v_cmp_le_u32_e64 s[2:3], s33, v0
	v_cmp_ne_u32_e64 s[0:1], 1, v12
	s_andn2_b64 vcc, exec, s[24:25]
	v_lshl_add_u64 v[12:13], s[8:9], 0, v[0:1]
	s_barrier
	s_cbranch_vccnz .LBB21_31
; %bb.30:
	v_subrev_u32_e32 v14, s33, v0
	v_mov_b32_e32 v15, v1
	v_lshl_add_u64 v[14:15], s[6:7], 0, v[14:15]
	v_lshl_add_u64 v[26:27], s[8:9], 0, v[0:1]
	v_or_b32_e32 v29, 0x80, v0
	v_cndmask_b32_e64 v15, v15, v27, s[4:5]
	v_cndmask_b32_e64 v14, v14, v26, s[4:5]
	s_mov_b64 s[4:5], 0x80
	v_subrev_u32_e32 v16, s33, v29
	v_mov_b32_e32 v17, v1
	global_load_ubyte v28, v[14:15], off
	v_lshl_add_u64 v[14:15], v[26:27], 0, s[4:5]
	v_lshl_add_u64 v[16:17], s[6:7], 0, v[16:17]
	v_cmp_gt_u32_e32 vcc, s33, v29
	v_or_b32_e32 v30, 0x100, v0
	s_mov_b64 s[4:5], 0x100
	v_cndmask_b32_e32 v15, v17, v15, vcc
	v_cndmask_b32_e32 v14, v16, v14, vcc
	v_subrev_u32_e32 v16, s33, v30
	v_mov_b32_e32 v17, v1
	global_load_ubyte v29, v[14:15], off
	v_lshl_add_u64 v[14:15], v[26:27], 0, s[4:5]
	v_lshl_add_u64 v[16:17], s[6:7], 0, v[16:17]
	v_cmp_gt_u32_e32 vcc, s33, v30
	v_or_b32_e32 v31, 0x180, v0
	s_mov_b64 s[4:5], 0x180
	v_cndmask_b32_e32 v15, v17, v15, vcc
	v_cndmask_b32_e32 v14, v16, v14, vcc
	;; [unrolled: 10-line block ×5, first 2 shown]
	v_subrev_u32_e32 v16, s33, v34
	v_mov_b32_e32 v17, v1
	global_load_ubyte v33, v[14:15], off
	v_lshl_add_u64 v[14:15], v[26:27], 0, s[4:5]
	v_lshl_add_u64 v[16:17], s[6:7], 0, v[16:17]
	v_cmp_gt_u32_e32 vcc, s33, v34
	s_mov_b64 s[4:5], 0x380
	s_nop 0
	v_cndmask_b32_e32 v15, v17, v15, vcc
	v_cndmask_b32_e32 v14, v16, v14, vcc
	global_load_ubyte v17, v[14:15], off
	v_or_b32_e32 v16, 0x380, v0
	v_lshl_add_u64 v[14:15], v[26:27], 0, s[4:5]
	v_subrev_u32_e32 v26, s33, v16
	v_mov_b32_e32 v27, v1
	v_lshl_add_u64 v[26:27], s[6:7], 0, v[26:27]
	v_cmp_gt_u32_e32 vcc, s33, v16
	s_mov_b64 s[4:5], -1
	s_waitcnt vmcnt(6)
	ds_write_b8 v0, v28
	s_waitcnt vmcnt(5)
	ds_write_b8 v0, v29 offset:128
	s_waitcnt vmcnt(4)
	ds_write_b8 v0, v30 offset:256
	;; [unrolled: 2-line block ×6, first 2 shown]
	v_cndmask_b32_e32 v15, v27, v15, vcc
	v_cndmask_b32_e32 v14, v26, v14, vcc
	s_cbranch_execz .LBB21_32
	s_branch .LBB21_67
.LBB21_31:
	s_mov_b64 s[4:5], 0
                                        ; implicit-def: $vgpr16
                                        ; implicit-def: $vgpr14_vgpr15
.LBB21_32:
	s_mov_b64 s[8:9], 0
                                        ; implicit-def: $vgpr14_vgpr15
	s_and_saveexec_b64 s[10:11], s[2:3]
	s_xor_b64 s[2:3], exec, s[10:11]
	s_cbranch_execnz .LBB21_108
; %bb.33:
	s_andn2_saveexec_b64 s[2:3], s[2:3]
	s_cbranch_execnz .LBB21_111
.LBB21_34:
	s_or_b64 exec, exec, s[2:3]
	s_and_saveexec_b64 s[2:3], s[8:9]
	s_cbranch_execz .LBB21_36
.LBB21_35:
	global_load_ubyte v1, v[14:15], off
	s_waitcnt vmcnt(0)
	ds_write_b8 v0, v1
.LBB21_36:
	s_or_b64 exec, exec, s[2:3]
	v_or_b32_e32 v14, 0x80, v0
	v_cmp_le_u32_e32 vcc, s33, v14
	s_mov_b64 s[2:3], -1
	v_mov_b64_e32 v[16:17], s[26:27]
	s_and_saveexec_b64 s[8:9], vcc
; %bb.37:
	v_subrev_u32_e32 v14, s33, v14
	v_cmp_gt_u32_e32 vcc, s34, v14
	v_mov_b64_e32 v[16:17], s[28:29]
	s_orn2_b64 s[2:3], vcc, exec
; %bb.38:
	s_or_b64 exec, exec, s[8:9]
	s_and_saveexec_b64 s[8:9], s[2:3]
	s_cbranch_execz .LBB21_40
; %bb.39:
	v_lshl_add_u64 v[16:17], s[16:17], 0, v[16:17]
	v_mov_b32_e32 v15, 0
	v_lshl_add_u64 v[14:15], v[16:17], 0, v[14:15]
	global_load_ubyte v1, v[14:15], off
	s_waitcnt vmcnt(0)
	ds_write_b8 v0, v1 offset:128
.LBB21_40:
	s_or_b64 exec, exec, s[8:9]
	v_or_b32_e32 v14, 0x100, v0
	v_cmp_le_u32_e32 vcc, s33, v14
	s_mov_b64 s[2:3], -1
	v_mov_b64_e32 v[16:17], s[26:27]
	s_and_saveexec_b64 s[8:9], vcc
; %bb.41:
	v_subrev_u32_e32 v14, s33, v14
	v_cmp_gt_u32_e32 vcc, s34, v14
	v_mov_b64_e32 v[16:17], s[28:29]
	s_orn2_b64 s[2:3], vcc, exec
; %bb.42:
	s_or_b64 exec, exec, s[8:9]
	s_and_saveexec_b64 s[8:9], s[2:3]
	s_cbranch_execz .LBB21_44
; %bb.43:
	v_lshl_add_u64 v[16:17], s[16:17], 0, v[16:17]
	v_mov_b32_e32 v15, 0
	v_lshl_add_u64 v[14:15], v[16:17], 0, v[14:15]
	global_load_ubyte v1, v[14:15], off
	s_waitcnt vmcnt(0)
	ds_write_b8 v0, v1 offset:256
.LBB21_44:
	;; [unrolled: 23-line block ×6, first 2 shown]
	s_or_b64 exec, exec, s[8:9]
	v_or_b32_e32 v1, 0x380, v0
	v_cmp_le_u32_e32 vcc, s33, v1
                                        ; implicit-def: $vgpr16
                                        ; implicit-def: $vgpr14_vgpr15
	s_and_saveexec_b64 s[2:3], vcc
	s_xor_b64 s[2:3], exec, s[2:3]
	s_cbranch_execz .LBB21_64
; %bb.61:
	v_subrev_u32_e32 v12, s33, v1
	v_cmp_gt_u32_e32 vcc, s34, v12
	s_mov_b64 s[8:9], s[4:5]
                                        ; implicit-def: $vgpr16
                                        ; implicit-def: $vgpr14_vgpr15
	s_and_saveexec_b64 s[10:11], vcc
; %bb.62:
	v_mov_b32_e32 v13, 0
	v_or_b32_e32 v16, 0x380, v0
	v_lshl_add_u64 v[14:15], s[6:7], 0, v[12:13]
	s_or_b64 s[8:9], s[4:5], exec
; %bb.63:
	s_or_b64 exec, exec, s[10:11]
	s_andn2_b64 s[4:5], s[4:5], exec
	s_and_b64 s[6:7], s[8:9], exec
	s_or_b64 s[4:5], s[4:5], s[6:7]
                                        ; implicit-def: $vgpr12_vgpr13
.LBB21_64:
	s_andn2_saveexec_b64 s[2:3], s[2:3]
; %bb.65:
	s_mov_b64 s[6:7], 0x380
	v_lshl_add_u64 v[14:15], v[12:13], 0, s[6:7]
	v_or_b32_e32 v16, 0x380, v0
	s_or_b64 s[4:5], s[4:5], exec
; %bb.66:
	s_or_b64 exec, exec, s[2:3]
.LBB21_67:
	s_and_saveexec_b64 s[2:3], s[4:5]
	s_cbranch_execz .LBB21_69
; %bb.68:
	global_load_ubyte v1, v[14:15], off
	s_waitcnt vmcnt(0)
	ds_write_b8 v16, v1
.LBB21_69:
	s_or_b64 exec, exec, s[2:3]
	s_and_b64 vcc, exec, s[0:1]
	v_add_u32_e32 v12, s22, v11
	s_waitcnt lgkmcnt(0)
	s_barrier
	s_cbranch_vccnz .LBB21_71
; %bb.70:
	ds_read_u8 v1, v18
	ds_read_u8 v14, v19
	;; [unrolled: 1-line block ×7, first 2 shown]
	s_waitcnt lgkmcnt(5)
	v_lshlrev_b16_e32 v14, 8, v14
	v_or_b32_e32 v1, v1, v14
	s_waitcnt lgkmcnt(3)
	v_lshlrev_b16_e32 v14, 8, v16
	v_or_b32_sdwa v14, v15, v14 dst_sel:WORD_1 dst_unused:UNUSED_PAD src0_sel:DWORD src1_sel:DWORD
	v_mov_b32_e32 v13, 0
	v_or_b32_sdwa v1, v1, v14 dst_sel:DWORD dst_unused:UNUSED_PAD src0_sel:WORD_0 src1_sel:DWORD
	s_waitcnt lgkmcnt(1)
	v_lshlrev_b16_e32 v14, 8, v26
	s_mov_b64 s[0:1], -1
	v_or_b32_e32 v14, v17, v14
	s_waitcnt lgkmcnt(0)
	global_store_byte v12, v27, s[18:19] offset:6
	global_store_short v12, v14, s[18:19] offset:4
	global_store_dword v12, v1, s[18:19]
	s_cbranch_execz .LBB21_72
	s_branch .LBB21_89
.LBB21_71:
	s_mov_b64 s[0:1], 0
.LBB21_72:
	v_cmp_gt_u32_e32 vcc, s21, v11
	s_and_saveexec_b64 s[2:3], vcc
	s_cbranch_execz .LBB21_74
; %bb.73:
	ds_read_u8 v1, v18
	s_waitcnt lgkmcnt(0)
	global_store_byte v12, v1, s[18:19]
.LBB21_74:
	s_or_b64 exec, exec, s[2:3]
	v_or_b32_e32 v1, 1, v11
	v_cmp_gt_u32_e32 vcc, s21, v1
	s_and_saveexec_b64 s[2:3], vcc
	s_cbranch_execz .LBB21_76
; %bb.75:
	ds_read_u8 v1, v19
	s_waitcnt lgkmcnt(0)
	global_store_byte v12, v1, s[18:19] offset:1
.LBB21_76:
	s_or_b64 exec, exec, s[2:3]
	v_or_b32_e32 v1, 2, v11
	v_cmp_gt_u32_e32 vcc, s21, v1
	s_and_saveexec_b64 s[2:3], vcc
	s_cbranch_execz .LBB21_78
; %bb.77:
	ds_read_u8 v1, v20
	s_waitcnt lgkmcnt(0)
	global_store_byte v12, v1, s[18:19] offset:2
.LBB21_78:
	;; [unrolled: 10-line block ×6, first 2 shown]
	s_or_b64 exec, exec, s[2:3]
	v_or_b32_e32 v1, 7, v11
	v_cmp_gt_u32_e32 vcc, s21, v1
	s_and_saveexec_b64 s[2:3], vcc
; %bb.87:
	v_mov_b32_e32 v13, 0
	s_or_b64 s[0:1], s[0:1], exec
; %bb.88:
	s_or_b64 exec, exec, s[2:3]
.LBB21_89:
	s_and_saveexec_b64 s[2:3], s[0:1]
	s_cbranch_execz .LBB21_91
; %bb.90:
	ds_read_u8 v1, v22
	v_lshl_add_u64 v[12:13], s[18:19], 0, v[12:13]
	s_waitcnt lgkmcnt(0)
	global_store_byte v[12:13], v1, off offset:7
.LBB21_91:
	s_or_b64 exec, exec, s[2:3]
	v_and_b32_e32 v1, 0x7c, v0
	v_lshl_add_u32 v1, v11, 2, v1
	s_barrier
	s_barrier
	ds_write2_b32 v1, v2, v3 offset1:1
	ds_write2_b32 v1, v4, v5 offset0:2 offset1:3
	ds_write2_b32 v1, v6, v7 offset0:4 offset1:5
	;; [unrolled: 1-line block ×3, first 2 shown]
	v_lshrrev_b32_e32 v1, 3, v0
	v_and_b32_e32 v1, 12, v1
	v_or_b32_e32 v11, 0x80, v0
	v_add_u32_e32 v12, v10, v1
	v_lshrrev_b32_e32 v1, 3, v11
	v_and_b32_e32 v1, 28, v1
	v_or_b32_e32 v9, 0x100, v0
	v_add_u32_e32 v13, v10, v1
	;; [unrolled: 4-line block ×6, first 2 shown]
	v_lshrrev_b32_e32 v1, 3, v4
	v_and_b32_e32 v1, 0x6c, v1
	s_mov_b32 s23, 0
	v_add_u32_e32 v18, v10, v1
	v_or_b32_e32 v1, 0x380, v0
	s_lshl_b64 s[0:1], s[22:23], 2
	v_lshrrev_b32_e32 v2, 3, v1
	s_add_u32 s0, s14, s0
	v_and_b32_e32 v2, 0x7c, v2
	s_addc_u32 s1, s15, s1
	v_add_u32_e32 v19, v10, v2
	v_lshlrev_b32_e32 v2, 2, v0
	v_mov_b32_e32 v3, 0
	v_lshl_add_u64 v[2:3], s[0:1], 0, v[2:3]
	s_and_b64 vcc, exec, s[24:25]
	s_waitcnt lgkmcnt(0)
	s_cbranch_vccz .LBB21_93
; %bb.92:
	s_barrier
	ds_read_b32 v10, v12
	ds_read_b32 v20, v13 offset:512
	ds_read_b32 v21, v14 offset:1024
	;; [unrolled: 1-line block ×7, first 2 shown]
	s_waitcnt lgkmcnt(7)
	global_store_dword v[2:3], v10, off
	s_waitcnt lgkmcnt(6)
	global_store_dword v[2:3], v20, off offset:512
	s_waitcnt lgkmcnt(5)
	global_store_dword v[2:3], v21, off offset:1024
	;; [unrolled: 2-line block ×6, first 2 shown]
	s_mov_b64 s[0:1], -1
	s_cbranch_execz .LBB21_94
	s_branch .LBB21_103
.LBB21_93:
	s_mov_b64 s[0:1], 0
                                        ; implicit-def: $vgpr7
.LBB21_94:
	s_barrier
	s_waitcnt lgkmcnt(0)
	ds_read_b32 v21, v13 offset:512
	ds_read_b32 v20, v14 offset:1024
	;; [unrolled: 1-line block ×7, first 2 shown]
	s_sub_i32 s2, s20, s22
	v_cmp_gt_u32_e32 vcc, s2, v0
	s_and_saveexec_b64 s[0:1], vcc
	s_cbranch_execnz .LBB21_112
; %bb.95:
	s_or_b64 exec, exec, s[0:1]
	v_cmp_gt_u32_e32 vcc, s2, v11
	s_and_saveexec_b64 s[0:1], vcc
	s_cbranch_execnz .LBB21_113
.LBB21_96:
	s_or_b64 exec, exec, s[0:1]
	v_cmp_gt_u32_e32 vcc, s2, v9
	s_and_saveexec_b64 s[0:1], vcc
	s_cbranch_execnz .LBB21_114
.LBB21_97:
	s_or_b64 exec, exec, s[0:1]
	v_cmp_gt_u32_e32 vcc, s2, v8
	s_and_saveexec_b64 s[0:1], vcc
	s_cbranch_execnz .LBB21_115
.LBB21_98:
	s_or_b64 exec, exec, s[0:1]
	v_cmp_gt_u32_e32 vcc, s2, v6
	s_and_saveexec_b64 s[0:1], vcc
	s_cbranch_execnz .LBB21_116
.LBB21_99:
	s_or_b64 exec, exec, s[0:1]
	v_cmp_gt_u32_e32 vcc, s2, v5
	s_and_saveexec_b64 s[0:1], vcc
	s_cbranch_execnz .LBB21_117
.LBB21_100:
	s_or_b64 exec, exec, s[0:1]
	v_cmp_gt_u32_e32 vcc, s2, v4
	s_and_saveexec_b64 s[0:1], vcc
	s_cbranch_execz .LBB21_102
.LBB21_101:
	s_waitcnt lgkmcnt(1)
	global_store_dword v[2:3], v10, off offset:3072
.LBB21_102:
	s_or_b64 exec, exec, s[0:1]
	v_cmp_gt_u32_e64 s[0:1], s2, v1
.LBB21_103:
	s_and_saveexec_b64 s[2:3], s[0:1]
	s_cbranch_execz .LBB21_105
; %bb.104:
	s_waitcnt lgkmcnt(0)
	global_store_dword v[2:3], v7, off offset:3584
.LBB21_105:
	s_endpgm
.LBB21_106:
	v_mov_b32_e32 v11, 0
	s_waitcnt vmcnt(5)
	v_subrev_u32_e32 v4, s33, v0
	s_waitcnt vmcnt(4)
	v_mov_b32_e32 v5, v11
	v_lshl_add_u64 v[2:3], s[0:1], 0, v[10:11]
	v_lshl_add_u64 v[4:5], v[4:5], 2, s[4:5]
	v_cmp_gt_u32_e32 vcc, s33, v0
	s_nop 1
	v_cndmask_b32_e32 v3, v5, v3, vcc
	v_cndmask_b32_e32 v2, v4, v2, vcc
	global_load_dword v2, v[2:3], off
	s_or_b64 exec, exec, s[2:3]
	v_cmp_gt_u32_e32 vcc, s21, v14
	s_and_saveexec_b64 s[2:3], vcc
	s_cbranch_execz .LBB21_6
.LBB21_107:
	v_mov_b32_e32 v15, 0
	v_lshl_add_u64 v[16:17], v[14:15], 2, s[0:1]
	v_cmp_gt_u32_e32 vcc, s33, v14
	v_subrev_u32_e32 v14, s33, v14
	v_lshl_add_u64 v[14:15], v[14:15], 2, s[4:5]
	v_cndmask_b32_e32 v15, v15, v17, vcc
	v_cndmask_b32_e32 v14, v14, v16, vcc
	global_load_dword v3, v[14:15], off
	s_or_b64 exec, exec, s[2:3]
	v_cmp_gt_u32_e32 vcc, s21, v12
	s_and_saveexec_b64 s[2:3], vcc
	s_cbranch_execnz .LBB21_7
	s_branch .LBB21_8
.LBB21_108:
	v_subrev_u32_e32 v16, s33, v0
	v_cmp_gt_u32_e32 vcc, s34, v16
                                        ; implicit-def: $vgpr14_vgpr15
	s_and_saveexec_b64 s[10:11], vcc
	s_xor_b64 s[10:11], exec, s[10:11]
; %bb.109:
	v_mov_b32_e32 v17, 0
	s_mov_b64 s[8:9], exec
	v_lshl_add_u64 v[14:15], s[6:7], 0, v[16:17]
; %bb.110:
	s_or_b64 exec, exec, s[10:11]
	s_and_b64 s[8:9], s[8:9], exec
	s_andn2_saveexec_b64 s[2:3], s[2:3]
	s_cbranch_execz .LBB21_34
.LBB21_111:
	s_or_b64 s[8:9], s[8:9], exec
	v_mov_b64_e32 v[14:15], v[12:13]
	s_or_b64 exec, exec, s[2:3]
	s_and_saveexec_b64 s[2:3], s[8:9]
	s_cbranch_execnz .LBB21_35
	s_branch .LBB21_36
.LBB21_112:
	ds_read_b32 v0, v12
	s_waitcnt lgkmcnt(0)
	global_store_dword v[2:3], v0, off
	s_or_b64 exec, exec, s[0:1]
	v_cmp_gt_u32_e32 vcc, s2, v11
	s_and_saveexec_b64 s[0:1], vcc
	s_cbranch_execz .LBB21_96
.LBB21_113:
	s_waitcnt lgkmcnt(6)
	global_store_dword v[2:3], v21, off offset:512
	s_or_b64 exec, exec, s[0:1]
	v_cmp_gt_u32_e32 vcc, s2, v9
	s_and_saveexec_b64 s[0:1], vcc
	s_cbranch_execz .LBB21_97
.LBB21_114:
	s_waitcnt lgkmcnt(5)
	global_store_dword v[2:3], v20, off offset:1024
	s_or_b64 exec, exec, s[0:1]
	v_cmp_gt_u32_e32 vcc, s2, v8
	s_and_saveexec_b64 s[0:1], vcc
	s_cbranch_execz .LBB21_98
.LBB21_115:
	s_waitcnt lgkmcnt(4)
	global_store_dword v[2:3], v15, off offset:1536
	s_or_b64 exec, exec, s[0:1]
	v_cmp_gt_u32_e32 vcc, s2, v6
	s_and_saveexec_b64 s[0:1], vcc
	s_cbranch_execz .LBB21_99
.LBB21_116:
	s_waitcnt lgkmcnt(3)
	global_store_dword v[2:3], v14, off offset:2048
	s_or_b64 exec, exec, s[0:1]
	v_cmp_gt_u32_e32 vcc, s2, v5
	s_and_saveexec_b64 s[0:1], vcc
	s_cbranch_execz .LBB21_100
.LBB21_117:
	s_waitcnt lgkmcnt(2)
	global_store_dword v[2:3], v13, off offset:2560
	s_or_b64 exec, exec, s[0:1]
	v_cmp_gt_u32_e32 vcc, s2, v4
	s_and_saveexec_b64 s[0:1], vcc
	s_cbranch_execnz .LBB21_101
	s_branch .LBB21_102
	.section	.rodata,"a",@progbits
	.p2align	6, 0x0
	.amdhsa_kernel _ZN7rocprim17ROCPRIM_304000_NS6detail35device_block_merge_mergepath_kernelINS1_37wrapped_merge_sort_block_merge_configINS0_14default_configEiN2at4cuda3cub6detail10OpaqueTypeILi1EEEEEPiSC_PSA_SD_jNS1_19radix_merge_compareILb0ELb1EiNS0_19identity_decomposerEEEEEvT0_T1_T2_T3_T4_SL_jT5_PKSL_NS1_7vsmem_tE
		.amdhsa_group_segment_fixed_size 4224
		.amdhsa_private_segment_fixed_size 0
		.amdhsa_kernarg_size 320
		.amdhsa_user_sgpr_count 2
		.amdhsa_user_sgpr_dispatch_ptr 0
		.amdhsa_user_sgpr_queue_ptr 0
		.amdhsa_user_sgpr_kernarg_segment_ptr 1
		.amdhsa_user_sgpr_dispatch_id 0
		.amdhsa_user_sgpr_kernarg_preload_length 0
		.amdhsa_user_sgpr_kernarg_preload_offset 0
		.amdhsa_user_sgpr_private_segment_size 0
		.amdhsa_uses_dynamic_stack 0
		.amdhsa_enable_private_segment 0
		.amdhsa_system_sgpr_workgroup_id_x 1
		.amdhsa_system_sgpr_workgroup_id_y 1
		.amdhsa_system_sgpr_workgroup_id_z 1
		.amdhsa_system_sgpr_workgroup_info 0
		.amdhsa_system_vgpr_workitem_id 0
		.amdhsa_next_free_vgpr 35
		.amdhsa_next_free_sgpr 35
		.amdhsa_accum_offset 36
		.amdhsa_reserve_vcc 1
		.amdhsa_float_round_mode_32 0
		.amdhsa_float_round_mode_16_64 0
		.amdhsa_float_denorm_mode_32 3
		.amdhsa_float_denorm_mode_16_64 3
		.amdhsa_dx10_clamp 1
		.amdhsa_ieee_mode 1
		.amdhsa_fp16_overflow 0
		.amdhsa_tg_split 0
		.amdhsa_exception_fp_ieee_invalid_op 0
		.amdhsa_exception_fp_denorm_src 0
		.amdhsa_exception_fp_ieee_div_zero 0
		.amdhsa_exception_fp_ieee_overflow 0
		.amdhsa_exception_fp_ieee_underflow 0
		.amdhsa_exception_fp_ieee_inexact 0
		.amdhsa_exception_int_div_zero 0
	.end_amdhsa_kernel
	.section	.text._ZN7rocprim17ROCPRIM_304000_NS6detail35device_block_merge_mergepath_kernelINS1_37wrapped_merge_sort_block_merge_configINS0_14default_configEiN2at4cuda3cub6detail10OpaqueTypeILi1EEEEEPiSC_PSA_SD_jNS1_19radix_merge_compareILb0ELb1EiNS0_19identity_decomposerEEEEEvT0_T1_T2_T3_T4_SL_jT5_PKSL_NS1_7vsmem_tE,"axG",@progbits,_ZN7rocprim17ROCPRIM_304000_NS6detail35device_block_merge_mergepath_kernelINS1_37wrapped_merge_sort_block_merge_configINS0_14default_configEiN2at4cuda3cub6detail10OpaqueTypeILi1EEEEEPiSC_PSA_SD_jNS1_19radix_merge_compareILb0ELb1EiNS0_19identity_decomposerEEEEEvT0_T1_T2_T3_T4_SL_jT5_PKSL_NS1_7vsmem_tE,comdat
.Lfunc_end21:
	.size	_ZN7rocprim17ROCPRIM_304000_NS6detail35device_block_merge_mergepath_kernelINS1_37wrapped_merge_sort_block_merge_configINS0_14default_configEiN2at4cuda3cub6detail10OpaqueTypeILi1EEEEEPiSC_PSA_SD_jNS1_19radix_merge_compareILb0ELb1EiNS0_19identity_decomposerEEEEEvT0_T1_T2_T3_T4_SL_jT5_PKSL_NS1_7vsmem_tE, .Lfunc_end21-_ZN7rocprim17ROCPRIM_304000_NS6detail35device_block_merge_mergepath_kernelINS1_37wrapped_merge_sort_block_merge_configINS0_14default_configEiN2at4cuda3cub6detail10OpaqueTypeILi1EEEEEPiSC_PSA_SD_jNS1_19radix_merge_compareILb0ELb1EiNS0_19identity_decomposerEEEEEvT0_T1_T2_T3_T4_SL_jT5_PKSL_NS1_7vsmem_tE
                                        ; -- End function
	.section	.AMDGPU.csdata,"",@progbits
; Kernel info:
; codeLenInByte = 5328
; NumSgprs: 41
; NumVgprs: 35
; NumAgprs: 0
; TotalNumVgprs: 35
; ScratchSize: 0
; MemoryBound: 0
; FloatMode: 240
; IeeeMode: 1
; LDSByteSize: 4224 bytes/workgroup (compile time only)
; SGPRBlocks: 5
; VGPRBlocks: 4
; NumSGPRsForWavesPerEU: 41
; NumVGPRsForWavesPerEU: 35
; AccumOffset: 36
; Occupancy: 8
; WaveLimiterHint : 1
; COMPUTE_PGM_RSRC2:SCRATCH_EN: 0
; COMPUTE_PGM_RSRC2:USER_SGPR: 2
; COMPUTE_PGM_RSRC2:TRAP_HANDLER: 0
; COMPUTE_PGM_RSRC2:TGID_X_EN: 1
; COMPUTE_PGM_RSRC2:TGID_Y_EN: 1
; COMPUTE_PGM_RSRC2:TGID_Z_EN: 1
; COMPUTE_PGM_RSRC2:TIDIG_COMP_CNT: 0
; COMPUTE_PGM_RSRC3_GFX90A:ACCUM_OFFSET: 8
; COMPUTE_PGM_RSRC3_GFX90A:TG_SPLIT: 0
	.section	.text._ZN7rocprim17ROCPRIM_304000_NS6detail33device_block_merge_oddeven_kernelINS1_37wrapped_merge_sort_block_merge_configINS0_14default_configEiN2at4cuda3cub6detail10OpaqueTypeILi1EEEEEPiSC_PSA_SD_jNS1_19radix_merge_compareILb0ELb1EiNS0_19identity_decomposerEEEEEvT0_T1_T2_T3_T4_SL_T5_,"axG",@progbits,_ZN7rocprim17ROCPRIM_304000_NS6detail33device_block_merge_oddeven_kernelINS1_37wrapped_merge_sort_block_merge_configINS0_14default_configEiN2at4cuda3cub6detail10OpaqueTypeILi1EEEEEPiSC_PSA_SD_jNS1_19radix_merge_compareILb0ELb1EiNS0_19identity_decomposerEEEEEvT0_T1_T2_T3_T4_SL_T5_,comdat
	.protected	_ZN7rocprim17ROCPRIM_304000_NS6detail33device_block_merge_oddeven_kernelINS1_37wrapped_merge_sort_block_merge_configINS0_14default_configEiN2at4cuda3cub6detail10OpaqueTypeILi1EEEEEPiSC_PSA_SD_jNS1_19radix_merge_compareILb0ELb1EiNS0_19identity_decomposerEEEEEvT0_T1_T2_T3_T4_SL_T5_ ; -- Begin function _ZN7rocprim17ROCPRIM_304000_NS6detail33device_block_merge_oddeven_kernelINS1_37wrapped_merge_sort_block_merge_configINS0_14default_configEiN2at4cuda3cub6detail10OpaqueTypeILi1EEEEEPiSC_PSA_SD_jNS1_19radix_merge_compareILb0ELb1EiNS0_19identity_decomposerEEEEEvT0_T1_T2_T3_T4_SL_T5_
	.globl	_ZN7rocprim17ROCPRIM_304000_NS6detail33device_block_merge_oddeven_kernelINS1_37wrapped_merge_sort_block_merge_configINS0_14default_configEiN2at4cuda3cub6detail10OpaqueTypeILi1EEEEEPiSC_PSA_SD_jNS1_19radix_merge_compareILb0ELb1EiNS0_19identity_decomposerEEEEEvT0_T1_T2_T3_T4_SL_T5_
	.p2align	8
	.type	_ZN7rocprim17ROCPRIM_304000_NS6detail33device_block_merge_oddeven_kernelINS1_37wrapped_merge_sort_block_merge_configINS0_14default_configEiN2at4cuda3cub6detail10OpaqueTypeILi1EEEEEPiSC_PSA_SD_jNS1_19radix_merge_compareILb0ELb1EiNS0_19identity_decomposerEEEEEvT0_T1_T2_T3_T4_SL_T5_,@function
_ZN7rocprim17ROCPRIM_304000_NS6detail33device_block_merge_oddeven_kernelINS1_37wrapped_merge_sort_block_merge_configINS0_14default_configEiN2at4cuda3cub6detail10OpaqueTypeILi1EEEEEPiSC_PSA_SD_jNS1_19radix_merge_compareILb0ELb1EiNS0_19identity_decomposerEEEEEvT0_T1_T2_T3_T4_SL_T5_: ; @_ZN7rocprim17ROCPRIM_304000_NS6detail33device_block_merge_oddeven_kernelINS1_37wrapped_merge_sort_block_merge_configINS0_14default_configEiN2at4cuda3cub6detail10OpaqueTypeILi1EEEEEPiSC_PSA_SD_jNS1_19radix_merge_compareILb0ELb1EiNS0_19identity_decomposerEEEEEvT0_T1_T2_T3_T4_SL_T5_
; %bb.0:
	s_load_dwordx4 s[16:19], s[0:1], 0x20
	s_waitcnt lgkmcnt(0)
	s_lshr_b32 s3, s16, 8
	s_cmp_lg_u32 s2, s3
	s_cselect_b64 s[8:9], -1, 0
	s_cmp_eq_u32 s2, s3
	s_cselect_b64 s[6:7], -1, 0
	s_lshl_b32 s20, s2, 8
	s_sub_i32 s3, s16, s20
	v_cmp_gt_u32_e64 s[4:5], s3, v0
	s_or_b64 s[8:9], s[8:9], s[4:5]
	s_and_saveexec_b64 s[10:11], s[8:9]
	s_cbranch_execz .LBB22_26
; %bb.1:
	s_load_dwordx8 s[8:15], s[0:1], 0x0
	s_mov_b32 s21, 0
	s_lshl_b64 s[0:1], s[20:21], 2
	v_lshlrev_b32_e32 v1, 2, v0
	v_add_u32_e32 v2, s20, v0
	s_waitcnt lgkmcnt(0)
	s_add_u32 s0, s8, s0
	s_addc_u32 s1, s9, s1
	s_add_u32 s12, s12, s20
	s_addc_u32 s13, s13, 0
	global_load_ubyte v4, v0, s[12:13]
	global_load_dword v5, v1, s[0:1]
	s_lshr_b32 s0, s17, 8
	s_sub_i32 s1, 0, s0
	s_and_b32 s1, s2, s1
	s_and_b32 s0, s1, s0
	s_lshl_b32 s22, s1, 8
	s_sub_i32 s12, 0, s17
	s_cmp_eq_u32 s0, 0
	s_cselect_b64 s[0:1], -1, 0
	s_and_b64 s[2:3], s[0:1], exec
	s_cselect_b32 s19, s17, s12
	s_add_i32 s19, s19, s22
	s_cmp_lt_u32 s19, s16
	s_cbranch_scc1 .LBB22_6
; %bb.2:
	s_and_b64 vcc, exec, s[6:7]
	s_cbranch_vccz .LBB22_7
; %bb.3:
	v_cmp_gt_u32_e32 vcc, s16, v2
	s_mov_b64 s[12:13], 0
	s_mov_b64 s[2:3], 0
                                        ; implicit-def: $vgpr0_vgpr1
	s_and_saveexec_b64 s[20:21], vcc
	s_cbranch_execz .LBB22_5
; %bb.4:
	v_mov_b32_e32 v3, 0
	s_mov_b64 s[2:3], exec
	v_lshl_add_u64 v[0:1], s[14:15], 0, v[2:3]
	v_lshl_add_u64 v[6:7], v[2:3], 2, s[10:11]
	s_waitcnt vmcnt(0)
	global_store_dword v[6:7], v5, off
.LBB22_5:
	s_or_b64 exec, exec, s[20:21]
	s_and_b64 vcc, exec, s[12:13]
	s_cbranch_vccnz .LBB22_8
	s_branch .LBB22_9
.LBB22_6:
	s_mov_b64 s[2:3], 0
                                        ; implicit-def: $vgpr0_vgpr1
	s_cbranch_execnz .LBB22_10
	s_branch .LBB22_24
.LBB22_7:
	s_mov_b64 s[2:3], 0
                                        ; implicit-def: $vgpr0_vgpr1
	s_cbranch_execz .LBB22_9
.LBB22_8:
	v_mov_b32_e32 v3, 0
	v_lshl_add_u64 v[0:1], v[2:3], 2, s[10:11]
	s_waitcnt vmcnt(0)
	global_store_dword v[0:1], v5, off
	v_lshl_add_u64 v[0:1], s[14:15], 0, v[2:3]
	s_or_b64 s[2:3], s[2:3], exec
.LBB22_9:
	s_branch .LBB22_24
.LBB22_10:
	s_min_u32 s12, s19, s16
	s_add_i32 s13, s12, s17
	s_min_u32 s13, s13, s16
	s_min_u32 s16, s22, s12
	s_add_i32 s22, s22, s12
	v_subrev_u32_e32 v0, s22, v2
	v_add_u32_e32 v2, s16, v0
	s_and_b64 vcc, exec, s[6:7]
	s_cbranch_vccz .LBB22_18
; %bb.11:
                                        ; implicit-def: $vgpr0_vgpr1
	s_and_saveexec_b64 s[6:7], s[4:5]
	s_cbranch_execz .LBB22_17
; %bb.12:
	s_cmp_ge_u32 s19, s13
	v_mov_b32_e32 v3, s12
	s_cbranch_scc1 .LBB22_16
; %bb.13:
	s_waitcnt vmcnt(0)
	v_and_b32_e32 v6, s18, v5
	s_mov_b64 s[4:5], 0
	v_mov_b32_e32 v7, s13
	v_mov_b32_e32 v3, s12
	;; [unrolled: 1-line block ×3, first 2 shown]
.LBB22_14:                              ; =>This Inner Loop Header: Depth=1
	v_add_u32_e32 v0, v3, v7
	v_lshrrev_b32_e32 v0, 1, v0
	v_lshl_add_u64 v[8:9], v[0:1], 2, s[8:9]
	global_load_dword v8, v[8:9], off
	v_add_u32_e32 v9, 1, v0
	s_waitcnt vmcnt(0)
	v_and_b32_e32 v8, s18, v8
	v_cmp_gt_i32_e32 vcc, v6, v8
	s_nop 1
	v_cndmask_b32_e64 v10, 0, 1, vcc
	v_cmp_le_i32_e32 vcc, v8, v6
	s_nop 1
	v_cndmask_b32_e64 v8, 0, 1, vcc
	v_cndmask_b32_e64 v8, v8, v10, s[0:1]
	v_and_b32_e32 v8, 1, v8
	v_cmp_eq_u32_e32 vcc, 1, v8
	s_nop 1
	v_cndmask_b32_e32 v7, v0, v7, vcc
	v_cndmask_b32_e32 v3, v3, v9, vcc
	v_cmp_ge_u32_e32 vcc, v3, v7
	s_or_b64 s[4:5], vcc, s[4:5]
	s_andn2_b64 exec, exec, s[4:5]
	s_cbranch_execnz .LBB22_14
; %bb.15:
	s_or_b64 exec, exec, s[4:5]
.LBB22_16:
	v_add_u32_e32 v0, v3, v2
	v_mov_b32_e32 v1, 0
	v_lshl_add_u64 v[6:7], v[0:1], 2, s[10:11]
	s_waitcnt vmcnt(0)
	global_store_dword v[6:7], v5, off
	v_lshl_add_u64 v[0:1], s[14:15], 0, v[0:1]
	s_or_b64 s[2:3], s[2:3], exec
.LBB22_17:
	s_or_b64 exec, exec, s[6:7]
	s_branch .LBB22_24
.LBB22_18:
                                        ; implicit-def: $vgpr0_vgpr1
	s_cbranch_execz .LBB22_24
; %bb.19:
	s_cmp_ge_u32 s19, s13
	v_mov_b32_e32 v3, s12
	s_cbranch_scc1 .LBB22_23
; %bb.20:
	s_waitcnt vmcnt(0)
	v_and_b32_e32 v6, s18, v5
	s_mov_b64 s[2:3], 0
	v_mov_b32_e32 v7, s13
	v_mov_b32_e32 v3, s12
	;; [unrolled: 1-line block ×3, first 2 shown]
.LBB22_21:                              ; =>This Inner Loop Header: Depth=1
	v_add_u32_e32 v0, v3, v7
	v_lshrrev_b32_e32 v0, 1, v0
	v_lshl_add_u64 v[8:9], v[0:1], 2, s[8:9]
	global_load_dword v8, v[8:9], off
	v_add_u32_e32 v9, 1, v0
	s_waitcnt vmcnt(0)
	v_and_b32_e32 v8, s18, v8
	v_cmp_gt_i32_e32 vcc, v6, v8
	s_nop 1
	v_cndmask_b32_e64 v10, 0, 1, vcc
	v_cmp_le_i32_e32 vcc, v8, v6
	s_nop 1
	v_cndmask_b32_e64 v8, 0, 1, vcc
	v_cndmask_b32_e64 v8, v8, v10, s[0:1]
	v_and_b32_e32 v8, 1, v8
	v_cmp_eq_u32_e32 vcc, 1, v8
	s_nop 1
	v_cndmask_b32_e32 v7, v0, v7, vcc
	v_cndmask_b32_e32 v3, v3, v9, vcc
	v_cmp_ge_u32_e32 vcc, v3, v7
	s_or_b64 s[2:3], vcc, s[2:3]
	s_andn2_b64 exec, exec, s[2:3]
	s_cbranch_execnz .LBB22_21
; %bb.22:
	s_or_b64 exec, exec, s[2:3]
.LBB22_23:
	v_add_u32_e32 v0, v3, v2
	v_mov_b32_e32 v1, 0
	v_lshl_add_u64 v[2:3], v[0:1], 2, s[10:11]
	v_lshl_add_u64 v[0:1], s[14:15], 0, v[0:1]
	s_mov_b64 s[2:3], -1
	s_waitcnt vmcnt(0)
	global_store_dword v[2:3], v5, off
.LBB22_24:
	s_and_b64 exec, exec, s[2:3]
	s_cbranch_execz .LBB22_26
; %bb.25:
	s_waitcnt vmcnt(1)
	global_store_byte v[0:1], v4, off
.LBB22_26:
	s_endpgm
	.section	.rodata,"a",@progbits
	.p2align	6, 0x0
	.amdhsa_kernel _ZN7rocprim17ROCPRIM_304000_NS6detail33device_block_merge_oddeven_kernelINS1_37wrapped_merge_sort_block_merge_configINS0_14default_configEiN2at4cuda3cub6detail10OpaqueTypeILi1EEEEEPiSC_PSA_SD_jNS1_19radix_merge_compareILb0ELb1EiNS0_19identity_decomposerEEEEEvT0_T1_T2_T3_T4_SL_T5_
		.amdhsa_group_segment_fixed_size 0
		.amdhsa_private_segment_fixed_size 0
		.amdhsa_kernarg_size 44
		.amdhsa_user_sgpr_count 2
		.amdhsa_user_sgpr_dispatch_ptr 0
		.amdhsa_user_sgpr_queue_ptr 0
		.amdhsa_user_sgpr_kernarg_segment_ptr 1
		.amdhsa_user_sgpr_dispatch_id 0
		.amdhsa_user_sgpr_kernarg_preload_length 0
		.amdhsa_user_sgpr_kernarg_preload_offset 0
		.amdhsa_user_sgpr_private_segment_size 0
		.amdhsa_uses_dynamic_stack 0
		.amdhsa_enable_private_segment 0
		.amdhsa_system_sgpr_workgroup_id_x 1
		.amdhsa_system_sgpr_workgroup_id_y 0
		.amdhsa_system_sgpr_workgroup_id_z 0
		.amdhsa_system_sgpr_workgroup_info 0
		.amdhsa_system_vgpr_workitem_id 0
		.amdhsa_next_free_vgpr 11
		.amdhsa_next_free_sgpr 23
		.amdhsa_accum_offset 12
		.amdhsa_reserve_vcc 1
		.amdhsa_float_round_mode_32 0
		.amdhsa_float_round_mode_16_64 0
		.amdhsa_float_denorm_mode_32 3
		.amdhsa_float_denorm_mode_16_64 3
		.amdhsa_dx10_clamp 1
		.amdhsa_ieee_mode 1
		.amdhsa_fp16_overflow 0
		.amdhsa_tg_split 0
		.amdhsa_exception_fp_ieee_invalid_op 0
		.amdhsa_exception_fp_denorm_src 0
		.amdhsa_exception_fp_ieee_div_zero 0
		.amdhsa_exception_fp_ieee_overflow 0
		.amdhsa_exception_fp_ieee_underflow 0
		.amdhsa_exception_fp_ieee_inexact 0
		.amdhsa_exception_int_div_zero 0
	.end_amdhsa_kernel
	.section	.text._ZN7rocprim17ROCPRIM_304000_NS6detail33device_block_merge_oddeven_kernelINS1_37wrapped_merge_sort_block_merge_configINS0_14default_configEiN2at4cuda3cub6detail10OpaqueTypeILi1EEEEEPiSC_PSA_SD_jNS1_19radix_merge_compareILb0ELb1EiNS0_19identity_decomposerEEEEEvT0_T1_T2_T3_T4_SL_T5_,"axG",@progbits,_ZN7rocprim17ROCPRIM_304000_NS6detail33device_block_merge_oddeven_kernelINS1_37wrapped_merge_sort_block_merge_configINS0_14default_configEiN2at4cuda3cub6detail10OpaqueTypeILi1EEEEEPiSC_PSA_SD_jNS1_19radix_merge_compareILb0ELb1EiNS0_19identity_decomposerEEEEEvT0_T1_T2_T3_T4_SL_T5_,comdat
.Lfunc_end22:
	.size	_ZN7rocprim17ROCPRIM_304000_NS6detail33device_block_merge_oddeven_kernelINS1_37wrapped_merge_sort_block_merge_configINS0_14default_configEiN2at4cuda3cub6detail10OpaqueTypeILi1EEEEEPiSC_PSA_SD_jNS1_19radix_merge_compareILb0ELb1EiNS0_19identity_decomposerEEEEEvT0_T1_T2_T3_T4_SL_T5_, .Lfunc_end22-_ZN7rocprim17ROCPRIM_304000_NS6detail33device_block_merge_oddeven_kernelINS1_37wrapped_merge_sort_block_merge_configINS0_14default_configEiN2at4cuda3cub6detail10OpaqueTypeILi1EEEEEPiSC_PSA_SD_jNS1_19radix_merge_compareILb0ELb1EiNS0_19identity_decomposerEEEEEvT0_T1_T2_T3_T4_SL_T5_
                                        ; -- End function
	.section	.AMDGPU.csdata,"",@progbits
; Kernel info:
; codeLenInByte = 776
; NumSgprs: 29
; NumVgprs: 11
; NumAgprs: 0
; TotalNumVgprs: 11
; ScratchSize: 0
; MemoryBound: 0
; FloatMode: 240
; IeeeMode: 1
; LDSByteSize: 0 bytes/workgroup (compile time only)
; SGPRBlocks: 3
; VGPRBlocks: 1
; NumSGPRsForWavesPerEU: 29
; NumVGPRsForWavesPerEU: 11
; AccumOffset: 12
; Occupancy: 8
; WaveLimiterHint : 0
; COMPUTE_PGM_RSRC2:SCRATCH_EN: 0
; COMPUTE_PGM_RSRC2:USER_SGPR: 2
; COMPUTE_PGM_RSRC2:TRAP_HANDLER: 0
; COMPUTE_PGM_RSRC2:TGID_X_EN: 1
; COMPUTE_PGM_RSRC2:TGID_Y_EN: 0
; COMPUTE_PGM_RSRC2:TGID_Z_EN: 0
; COMPUTE_PGM_RSRC2:TIDIG_COMP_CNT: 0
; COMPUTE_PGM_RSRC3_GFX90A:ACCUM_OFFSET: 2
; COMPUTE_PGM_RSRC3_GFX90A:TG_SPLIT: 0
	.section	.text._ZN7rocprim17ROCPRIM_304000_NS6detail26onesweep_histograms_kernelINS1_34wrapped_radix_sort_onesweep_configINS0_14default_configEiN2at4cuda3cub6detail10OpaqueTypeILi1EEEEELb0EPKimNS0_19identity_decomposerEEEvT1_PT2_SG_SG_T3_jj,"axG",@progbits,_ZN7rocprim17ROCPRIM_304000_NS6detail26onesweep_histograms_kernelINS1_34wrapped_radix_sort_onesweep_configINS0_14default_configEiN2at4cuda3cub6detail10OpaqueTypeILi1EEEEELb0EPKimNS0_19identity_decomposerEEEvT1_PT2_SG_SG_T3_jj,comdat
	.protected	_ZN7rocprim17ROCPRIM_304000_NS6detail26onesweep_histograms_kernelINS1_34wrapped_radix_sort_onesweep_configINS0_14default_configEiN2at4cuda3cub6detail10OpaqueTypeILi1EEEEELb0EPKimNS0_19identity_decomposerEEEvT1_PT2_SG_SG_T3_jj ; -- Begin function _ZN7rocprim17ROCPRIM_304000_NS6detail26onesweep_histograms_kernelINS1_34wrapped_radix_sort_onesweep_configINS0_14default_configEiN2at4cuda3cub6detail10OpaqueTypeILi1EEEEELb0EPKimNS0_19identity_decomposerEEEvT1_PT2_SG_SG_T3_jj
	.globl	_ZN7rocprim17ROCPRIM_304000_NS6detail26onesweep_histograms_kernelINS1_34wrapped_radix_sort_onesweep_configINS0_14default_configEiN2at4cuda3cub6detail10OpaqueTypeILi1EEEEELb0EPKimNS0_19identity_decomposerEEEvT1_PT2_SG_SG_T3_jj
	.p2align	8
	.type	_ZN7rocprim17ROCPRIM_304000_NS6detail26onesweep_histograms_kernelINS1_34wrapped_radix_sort_onesweep_configINS0_14default_configEiN2at4cuda3cub6detail10OpaqueTypeILi1EEEEELb0EPKimNS0_19identity_decomposerEEEvT1_PT2_SG_SG_T3_jj,@function
_ZN7rocprim17ROCPRIM_304000_NS6detail26onesweep_histograms_kernelINS1_34wrapped_radix_sort_onesweep_configINS0_14default_configEiN2at4cuda3cub6detail10OpaqueTypeILi1EEEEELb0EPKimNS0_19identity_decomposerEEEvT1_PT2_SG_SG_T3_jj: ; @_ZN7rocprim17ROCPRIM_304000_NS6detail26onesweep_histograms_kernelINS1_34wrapped_radix_sort_onesweep_configINS0_14default_configEiN2at4cuda3cub6detail10OpaqueTypeILi1EEEEELb0EPKimNS0_19identity_decomposerEEEvT1_PT2_SG_SG_T3_jj
; %bb.0:
	s_load_dwordx8 s[64:71], s[0:1], 0x0
	s_load_dwordx2 s[72:73], s[0:1], 0x24
	s_mov_b32 s3, 0
	s_lshl_b64 s[0:1], s[2:3], 17
	s_waitcnt lgkmcnt(0)
	v_mov_b64_e32 v[2:3], s[70:71]
	v_cmp_ge_u64_e32 vcc, s[2:3], v[2:3]
	s_add_u32 s74, s64, s0
	s_addc_u32 s75, s65, s1
	s_mov_b64 s[0:1], -1
	v_lshlrev_b32_e32 v2, 2, v0
	s_cbranch_vccz .LBB23_200
; %bb.1:
	s_lshl_b32 s0, s70, 15
	s_sub_i32 s33, s68, s0
	v_mov_b32_e32 v3, 0
	v_lshl_add_u64 v[4:5], s[74:75], 0, v[2:3]
	v_cmp_gt_u32_e64 s[64:65], s33, v0
                                        ; implicit-def: $vgpr1
	s_and_saveexec_b64 s[0:1], s[64:65]
	s_cbranch_execz .LBB23_3
; %bb.2:
	global_load_dword v1, v[4:5], off
.LBB23_3:
	s_or_b64 exec, exec, s[0:1]
	v_or_b32_e32 v3, 0x400, v0
	v_cmp_gt_u32_e64 s[62:63], s33, v3
                                        ; implicit-def: $vgpr35
	s_and_saveexec_b64 s[0:1], s[62:63]
	s_cbranch_execz .LBB23_5
; %bb.4:
	v_add_co_u32_e32 v6, vcc, 0x1000, v4
	s_nop 1
	v_addc_co_u32_e32 v7, vcc, 0, v5, vcc
	global_load_dword v35, v[6:7], off
.LBB23_5:
	s_or_b64 exec, exec, s[0:1]
	v_or_b32_e32 v3, 0x800, v0
	v_cmp_gt_u32_e64 s[60:61], s33, v3
                                        ; implicit-def: $vgpr34
	s_and_saveexec_b64 s[0:1], s[60:61]
	s_cbranch_execz .LBB23_7
; %bb.6:
	v_add_co_u32_e32 v6, vcc, 0x2000, v4
	s_nop 1
	v_addc_co_u32_e32 v7, vcc, 0, v5, vcc
	global_load_dword v34, v[6:7], off
.LBB23_7:
	s_or_b64 exec, exec, s[0:1]
	v_or_b32_e32 v3, 0xc00, v0
	v_cmp_gt_u32_e64 s[58:59], s33, v3
                                        ; implicit-def: $vgpr33
	s_and_saveexec_b64 s[0:1], s[58:59]
	s_cbranch_execz .LBB23_9
; %bb.8:
	v_add_co_u32_e32 v6, vcc, 0x3000, v4
	s_nop 1
	v_addc_co_u32_e32 v7, vcc, 0, v5, vcc
	global_load_dword v33, v[6:7], off
.LBB23_9:
	s_or_b64 exec, exec, s[0:1]
	v_or_b32_e32 v3, 0x1000, v0
	v_cmp_gt_u32_e64 s[56:57], s33, v3
                                        ; implicit-def: $vgpr32
	s_and_saveexec_b64 s[0:1], s[56:57]
	s_cbranch_execz .LBB23_11
; %bb.10:
	v_add_co_u32_e32 v6, vcc, 0x4000, v4
	s_nop 1
	v_addc_co_u32_e32 v7, vcc, 0, v5, vcc
	global_load_dword v32, v[6:7], off
.LBB23_11:
	s_or_b64 exec, exec, s[0:1]
	v_or_b32_e32 v3, 0x1400, v0
	v_cmp_gt_u32_e64 s[54:55], s33, v3
                                        ; implicit-def: $vgpr31
	s_and_saveexec_b64 s[0:1], s[54:55]
	s_cbranch_execz .LBB23_13
; %bb.12:
	v_add_co_u32_e32 v6, vcc, 0x5000, v4
	s_nop 1
	v_addc_co_u32_e32 v7, vcc, 0, v5, vcc
	global_load_dword v31, v[6:7], off
.LBB23_13:
	s_or_b64 exec, exec, s[0:1]
	v_or_b32_e32 v3, 0x1800, v0
	v_cmp_gt_u32_e64 s[52:53], s33, v3
                                        ; implicit-def: $vgpr30
	s_and_saveexec_b64 s[0:1], s[52:53]
	s_cbranch_execz .LBB23_15
; %bb.14:
	v_add_co_u32_e32 v6, vcc, 0x6000, v4
	s_nop 1
	v_addc_co_u32_e32 v7, vcc, 0, v5, vcc
	global_load_dword v30, v[6:7], off
.LBB23_15:
	s_or_b64 exec, exec, s[0:1]
	v_or_b32_e32 v3, 0x1c00, v0
	v_cmp_gt_u32_e64 s[50:51], s33, v3
                                        ; implicit-def: $vgpr29
	s_and_saveexec_b64 s[0:1], s[50:51]
	s_cbranch_execz .LBB23_17
; %bb.16:
	v_add_co_u32_e32 v6, vcc, 0x7000, v4
	s_nop 1
	v_addc_co_u32_e32 v7, vcc, 0, v5, vcc
	global_load_dword v29, v[6:7], off
.LBB23_17:
	s_or_b64 exec, exec, s[0:1]
	v_or_b32_e32 v3, 0x2000, v0
	v_cmp_gt_u32_e64 s[48:49], s33, v3
                                        ; implicit-def: $vgpr28
	s_and_saveexec_b64 s[0:1], s[48:49]
	s_cbranch_execz .LBB23_19
; %bb.18:
	v_add_co_u32_e32 v6, vcc, 0x8000, v4
	s_nop 1
	v_addc_co_u32_e32 v7, vcc, 0, v5, vcc
	global_load_dword v28, v[6:7], off
.LBB23_19:
	s_or_b64 exec, exec, s[0:1]
	v_or_b32_e32 v3, 0x2400, v0
	v_cmp_gt_u32_e64 s[46:47], s33, v3
                                        ; implicit-def: $vgpr27
	s_and_saveexec_b64 s[0:1], s[46:47]
	s_cbranch_execz .LBB23_21
; %bb.20:
	v_add_co_u32_e32 v6, vcc, 0x9000, v4
	s_nop 1
	v_addc_co_u32_e32 v7, vcc, 0, v5, vcc
	global_load_dword v27, v[6:7], off
.LBB23_21:
	s_or_b64 exec, exec, s[0:1]
	v_or_b32_e32 v3, 0x2800, v0
	v_cmp_gt_u32_e64 s[44:45], s33, v3
                                        ; implicit-def: $vgpr26
	s_and_saveexec_b64 s[0:1], s[44:45]
	s_cbranch_execz .LBB23_23
; %bb.22:
	v_add_co_u32_e32 v6, vcc, 0xa000, v4
	s_nop 1
	v_addc_co_u32_e32 v7, vcc, 0, v5, vcc
	global_load_dword v26, v[6:7], off
.LBB23_23:
	s_or_b64 exec, exec, s[0:1]
	v_or_b32_e32 v3, 0x2c00, v0
	v_cmp_gt_u32_e64 s[42:43], s33, v3
                                        ; implicit-def: $vgpr25
	s_and_saveexec_b64 s[0:1], s[42:43]
	s_cbranch_execz .LBB23_25
; %bb.24:
	v_add_co_u32_e32 v6, vcc, 0xb000, v4
	s_nop 1
	v_addc_co_u32_e32 v7, vcc, 0, v5, vcc
	global_load_dword v25, v[6:7], off
.LBB23_25:
	s_or_b64 exec, exec, s[0:1]
	v_or_b32_e32 v3, 0x3000, v0
	v_cmp_gt_u32_e64 s[40:41], s33, v3
                                        ; implicit-def: $vgpr24
	s_and_saveexec_b64 s[0:1], s[40:41]
	s_cbranch_execz .LBB23_27
; %bb.26:
	v_add_co_u32_e32 v6, vcc, 0xc000, v4
	s_nop 1
	v_addc_co_u32_e32 v7, vcc, 0, v5, vcc
	global_load_dword v24, v[6:7], off
.LBB23_27:
	s_or_b64 exec, exec, s[0:1]
	v_or_b32_e32 v3, 0x3400, v0
	v_cmp_gt_u32_e64 s[38:39], s33, v3
                                        ; implicit-def: $vgpr23
	s_and_saveexec_b64 s[0:1], s[38:39]
	s_cbranch_execz .LBB23_29
; %bb.28:
	v_add_co_u32_e32 v6, vcc, 0xd000, v4
	s_nop 1
	v_addc_co_u32_e32 v7, vcc, 0, v5, vcc
	global_load_dword v23, v[6:7], off
.LBB23_29:
	s_or_b64 exec, exec, s[0:1]
	v_or_b32_e32 v3, 0x3800, v0
	v_cmp_gt_u32_e64 s[36:37], s33, v3
                                        ; implicit-def: $vgpr22
	s_and_saveexec_b64 s[0:1], s[36:37]
	s_cbranch_execz .LBB23_31
; %bb.30:
	v_add_co_u32_e32 v6, vcc, 0xe000, v4
	s_nop 1
	v_addc_co_u32_e32 v7, vcc, 0, v5, vcc
	global_load_dword v22, v[6:7], off
.LBB23_31:
	s_or_b64 exec, exec, s[0:1]
	v_or_b32_e32 v3, 0x3c00, v0
	v_cmp_gt_u32_e64 s[34:35], s33, v3
                                        ; implicit-def: $vgpr21
	s_and_saveexec_b64 s[0:1], s[34:35]
	s_cbranch_execz .LBB23_33
; %bb.32:
	v_add_co_u32_e32 v6, vcc, 0xf000, v4
	s_nop 1
	v_addc_co_u32_e32 v7, vcc, 0, v5, vcc
	global_load_dword v21, v[6:7], off
.LBB23_33:
	s_or_b64 exec, exec, s[0:1]
	v_or_b32_e32 v3, 0x4000, v0
	v_cmp_gt_u32_e64 s[30:31], s33, v3
                                        ; implicit-def: $vgpr20
	s_and_saveexec_b64 s[0:1], s[30:31]
	s_cbranch_execz .LBB23_35
; %bb.34:
	v_add_co_u32_e32 v6, vcc, 0x10000, v4
	s_nop 1
	v_addc_co_u32_e32 v7, vcc, 0, v5, vcc
	global_load_dword v20, v[6:7], off
.LBB23_35:
	s_or_b64 exec, exec, s[0:1]
	v_or_b32_e32 v3, 0x4400, v0
	v_cmp_gt_u32_e64 s[28:29], s33, v3
                                        ; implicit-def: $vgpr19
	s_and_saveexec_b64 s[0:1], s[28:29]
	s_cbranch_execz .LBB23_37
; %bb.36:
	v_add_co_u32_e32 v6, vcc, 0x11000, v4
	s_nop 1
	v_addc_co_u32_e32 v7, vcc, 0, v5, vcc
	global_load_dword v19, v[6:7], off
.LBB23_37:
	s_or_b64 exec, exec, s[0:1]
	v_or_b32_e32 v3, 0x4800, v0
	v_cmp_gt_u32_e64 s[26:27], s33, v3
                                        ; implicit-def: $vgpr18
	s_and_saveexec_b64 s[0:1], s[26:27]
	s_cbranch_execz .LBB23_39
; %bb.38:
	v_add_co_u32_e32 v6, vcc, 0x12000, v4
	s_nop 1
	v_addc_co_u32_e32 v7, vcc, 0, v5, vcc
	global_load_dword v18, v[6:7], off
.LBB23_39:
	s_or_b64 exec, exec, s[0:1]
	v_or_b32_e32 v3, 0x4c00, v0
	v_cmp_gt_u32_e64 s[24:25], s33, v3
                                        ; implicit-def: $vgpr17
	s_and_saveexec_b64 s[0:1], s[24:25]
	s_cbranch_execz .LBB23_41
; %bb.40:
	v_add_co_u32_e32 v6, vcc, 0x13000, v4
	s_nop 1
	v_addc_co_u32_e32 v7, vcc, 0, v5, vcc
	global_load_dword v17, v[6:7], off
.LBB23_41:
	s_or_b64 exec, exec, s[0:1]
	v_or_b32_e32 v3, 0x5000, v0
	v_cmp_gt_u32_e64 s[22:23], s33, v3
                                        ; implicit-def: $vgpr16
	s_and_saveexec_b64 s[0:1], s[22:23]
	s_cbranch_execz .LBB23_43
; %bb.42:
	v_add_co_u32_e32 v6, vcc, 0x14000, v4
	s_nop 1
	v_addc_co_u32_e32 v7, vcc, 0, v5, vcc
	global_load_dword v16, v[6:7], off
.LBB23_43:
	s_or_b64 exec, exec, s[0:1]
	v_or_b32_e32 v3, 0x5400, v0
	v_cmp_gt_u32_e64 s[20:21], s33, v3
                                        ; implicit-def: $vgpr15
	s_and_saveexec_b64 s[0:1], s[20:21]
	s_cbranch_execz .LBB23_45
; %bb.44:
	v_add_co_u32_e32 v6, vcc, 0x15000, v4
	s_nop 1
	v_addc_co_u32_e32 v7, vcc, 0, v5, vcc
	global_load_dword v15, v[6:7], off
.LBB23_45:
	s_or_b64 exec, exec, s[0:1]
	v_or_b32_e32 v3, 0x5800, v0
	v_cmp_gt_u32_e64 s[18:19], s33, v3
                                        ; implicit-def: $vgpr14
	s_and_saveexec_b64 s[0:1], s[18:19]
	s_cbranch_execz .LBB23_47
; %bb.46:
	v_add_co_u32_e32 v6, vcc, 0x16000, v4
	s_nop 1
	v_addc_co_u32_e32 v7, vcc, 0, v5, vcc
	global_load_dword v14, v[6:7], off
.LBB23_47:
	s_or_b64 exec, exec, s[0:1]
	v_or_b32_e32 v3, 0x5c00, v0
	v_cmp_gt_u32_e64 s[16:17], s33, v3
                                        ; implicit-def: $vgpr13
	s_and_saveexec_b64 s[0:1], s[16:17]
	s_cbranch_execz .LBB23_49
; %bb.48:
	v_add_co_u32_e32 v6, vcc, 0x17000, v4
	s_nop 1
	v_addc_co_u32_e32 v7, vcc, 0, v5, vcc
	global_load_dword v13, v[6:7], off
.LBB23_49:
	s_or_b64 exec, exec, s[0:1]
	v_or_b32_e32 v3, 0x6000, v0
	v_cmp_gt_u32_e64 s[14:15], s33, v3
                                        ; implicit-def: $vgpr12
	s_and_saveexec_b64 s[0:1], s[14:15]
	s_cbranch_execz .LBB23_51
; %bb.50:
	v_add_co_u32_e32 v6, vcc, 0x18000, v4
	s_nop 1
	v_addc_co_u32_e32 v7, vcc, 0, v5, vcc
	global_load_dword v12, v[6:7], off
.LBB23_51:
	s_or_b64 exec, exec, s[0:1]
	v_or_b32_e32 v3, 0x6400, v0
	v_cmp_gt_u32_e64 s[12:13], s33, v3
                                        ; implicit-def: $vgpr11
	s_and_saveexec_b64 s[0:1], s[12:13]
	s_cbranch_execz .LBB23_53
; %bb.52:
	v_add_co_u32_e32 v6, vcc, 0x19000, v4
	s_nop 1
	v_addc_co_u32_e32 v7, vcc, 0, v5, vcc
	global_load_dword v11, v[6:7], off
.LBB23_53:
	s_or_b64 exec, exec, s[0:1]
	v_or_b32_e32 v3, 0x6800, v0
	v_cmp_gt_u32_e64 s[10:11], s33, v3
                                        ; implicit-def: $vgpr10
	s_and_saveexec_b64 s[0:1], s[10:11]
	s_cbranch_execz .LBB23_55
; %bb.54:
	v_add_co_u32_e32 v6, vcc, 0x1a000, v4
	s_nop 1
	v_addc_co_u32_e32 v7, vcc, 0, v5, vcc
	global_load_dword v10, v[6:7], off
.LBB23_55:
	s_or_b64 exec, exec, s[0:1]
	v_or_b32_e32 v3, 0x6c00, v0
	v_cmp_gt_u32_e64 s[8:9], s33, v3
                                        ; implicit-def: $vgpr9
	s_and_saveexec_b64 s[0:1], s[8:9]
	s_cbranch_execz .LBB23_57
; %bb.56:
	v_add_co_u32_e32 v6, vcc, 0x1b000, v4
	s_nop 1
	v_addc_co_u32_e32 v7, vcc, 0, v5, vcc
	global_load_dword v9, v[6:7], off
.LBB23_57:
	s_or_b64 exec, exec, s[0:1]
	v_or_b32_e32 v3, 0x7000, v0
	v_cmp_gt_u32_e64 s[6:7], s33, v3
                                        ; implicit-def: $vgpr8
	s_and_saveexec_b64 s[0:1], s[6:7]
	s_cbranch_execz .LBB23_59
; %bb.58:
	v_add_co_u32_e32 v6, vcc, 0x1c000, v4
	s_nop 1
	v_addc_co_u32_e32 v7, vcc, 0, v5, vcc
	global_load_dword v8, v[6:7], off
.LBB23_59:
	s_or_b64 exec, exec, s[0:1]
	v_or_b32_e32 v3, 0x7400, v0
	v_cmp_gt_u32_e64 s[4:5], s33, v3
                                        ; implicit-def: $vgpr7
	s_and_saveexec_b64 s[0:1], s[4:5]
	s_cbranch_execz .LBB23_61
; %bb.60:
	v_add_co_u32_e32 v6, vcc, 0x1d000, v4
	s_nop 1
	v_addc_co_u32_e32 v7, vcc, 0, v5, vcc
	global_load_dword v7, v[6:7], off
.LBB23_61:
	s_or_b64 exec, exec, s[0:1]
	v_or_b32_e32 v3, 0x7800, v0
	v_cmp_gt_u32_e64 s[2:3], s33, v3
                                        ; implicit-def: $vgpr6
	s_and_saveexec_b64 s[0:1], s[2:3]
	s_cbranch_execz .LBB23_63
; %bb.62:
	v_add_co_u32_e32 v36, vcc, 0x1e000, v4
	s_nop 1
	v_addc_co_u32_e32 v37, vcc, 0, v5, vcc
	global_load_dword v6, v[36:37], off
.LBB23_63:
	s_or_b64 exec, exec, s[0:1]
	v_or_b32_e32 v3, 0x7c00, v0
	v_cmp_gt_u32_e64 s[0:1], s33, v3
                                        ; implicit-def: $vgpr3
	s_and_saveexec_b64 s[68:69], s[0:1]
	s_cbranch_execz .LBB23_65
; %bb.64:
	v_add_co_u32_e32 v4, vcc, 0x1f000, v4
	s_nop 1
	v_addc_co_u32_e32 v5, vcc, 0, v5, vcc
	global_load_dword v3, v[4:5], off
.LBB23_65:
	s_or_b64 exec, exec, s[68:69]
	s_cmp_gt_u32 s73, s72
	v_mov_b32_e32 v4, 0
	s_cselect_b64 s[68:69], -1, 0
	s_cmp_le_u32 s73, s72
	ds_write2st64_b32 v2, v4, v4 offset1:16
	ds_write2st64_b32 v2, v4, v4 offset0:32 offset1:48
	s_waitcnt lgkmcnt(0)
	s_barrier
	s_cbranch_scc1 .LBB23_194
; %bb.66:
	s_waitcnt vmcnt(0)
	v_xor_b32_e32 v4, 0x80000000, v1
	v_and_b32_e32 v1, 3, v0
	v_lshlrev_b32_e32 v1, 2, v1
	s_sub_i32 s33, s73, s72
	v_mov_b32_e32 v5, 1
	s_mov_b32 s76, s33
	v_mov_b32_e32 v36, v1
	s_mov_b32 s77, s72
	s_branch .LBB23_68
.LBB23_67:                              ;   in Loop: Header=BB23_68 Depth=1
	s_or_b64 exec, exec, s[70:71]
	s_add_i32 s77, s77, 8
	s_add_i32 s76, s76, -8
	s_cmp_lt_u32 s77, s73
	v_add_u32_e32 v36, 0x1000, v36
	s_cbranch_scc0 .LBB23_70
.LBB23_68:                              ; =>This Inner Loop Header: Depth=1
	s_and_saveexec_b64 s[70:71], s[64:65]
	s_cbranch_execz .LBB23_67
; %bb.69:                               ;   in Loop: Header=BB23_68 Depth=1
	s_min_u32 s78, s76, 8
	v_lshrrev_b32_e32 v37, s77, v4
	v_bfe_u32 v37, v37, 0, s78
	v_lshl_add_u32 v37, v37, 4, v36
	ds_add_u32 v37, v5
	s_branch .LBB23_67
.LBB23_70:
	v_xor_b32_e32 v4, 0x80000000, v35
	v_mov_b32_e32 v5, 1
	s_mov_b32 s70, s33
	v_mov_b32_e32 v35, v1
	s_mov_b32 s71, s72
	s_branch .LBB23_72
.LBB23_71:                              ;   in Loop: Header=BB23_72 Depth=1
	s_or_b64 exec, exec, s[64:65]
	s_add_i32 s71, s71, 8
	s_add_i32 s70, s70, -8
	s_cmp_lt_u32 s71, s73
	v_add_u32_e32 v35, 0x1000, v35
	s_cbranch_scc0 .LBB23_74
.LBB23_72:                              ; =>This Inner Loop Header: Depth=1
	s_and_saveexec_b64 s[64:65], s[62:63]
	s_cbranch_execz .LBB23_71
; %bb.73:                               ;   in Loop: Header=BB23_72 Depth=1
	s_min_u32 s76, s70, 8
	v_lshrrev_b32_e32 v36, s71, v4
	v_bfe_u32 v36, v36, 0, s76
	v_lshl_add_u32 v36, v36, 4, v35
	ds_add_u32 v36, v5
	s_branch .LBB23_71
.LBB23_74:
	v_xor_b32_e32 v4, 0x80000000, v34
	;; [unrolled: 24-line block ×8, first 2 shown]
	v_mov_b32_e32 v5, 1
	s_mov_b32 s52, s33
	v_mov_b32_e32 v28, v1
	s_mov_b32 s53, s72
	s_branch .LBB23_100
.LBB23_99:                              ;   in Loop: Header=BB23_100 Depth=1
	s_or_b64 exec, exec, s[50:51]
	s_add_i32 s53, s53, 8
	s_add_i32 s52, s52, -8
	s_cmp_lt_u32 s53, s73
	v_add_u32_e32 v28, 0x1000, v28
	s_cbranch_scc0 .LBB23_102
.LBB23_100:                             ; =>This Inner Loop Header: Depth=1
	s_and_saveexec_b64 s[50:51], s[48:49]
	s_cbranch_execz .LBB23_99
; %bb.101:                              ;   in Loop: Header=BB23_100 Depth=1
	s_min_u32 s54, s52, 8
	v_lshrrev_b32_e32 v29, s53, v4
	v_bfe_u32 v29, v29, 0, s54
	v_lshl_add_u32 v29, v29, 4, v28
	ds_add_u32 v29, v5
	s_branch .LBB23_99
.LBB23_102:
	v_xor_b32_e32 v4, 0x80000000, v27
	v_mov_b32_e32 v5, 1
	s_mov_b32 s50, s33
	v_mov_b32_e32 v27, v1
	s_mov_b32 s51, s72
	s_branch .LBB23_104
.LBB23_103:                             ;   in Loop: Header=BB23_104 Depth=1
	s_or_b64 exec, exec, s[48:49]
	s_add_i32 s51, s51, 8
	s_add_i32 s50, s50, -8
	s_cmp_lt_u32 s51, s73
	v_add_u32_e32 v27, 0x1000, v27
	s_cbranch_scc0 .LBB23_106
.LBB23_104:                             ; =>This Inner Loop Header: Depth=1
	s_and_saveexec_b64 s[48:49], s[46:47]
	s_cbranch_execz .LBB23_103
; %bb.105:                              ;   in Loop: Header=BB23_104 Depth=1
	s_min_u32 s52, s50, 8
	v_lshrrev_b32_e32 v28, s51, v4
	v_bfe_u32 v28, v28, 0, s52
	v_lshl_add_u32 v28, v28, 4, v27
	ds_add_u32 v28, v5
	s_branch .LBB23_103
.LBB23_106:
	v_xor_b32_e32 v4, 0x80000000, v26
	v_mov_b32_e32 v5, 1
	s_mov_b32 s48, s33
	v_mov_b32_e32 v26, v1
	s_mov_b32 s49, s72
	s_branch .LBB23_108
.LBB23_107:                             ;   in Loop: Header=BB23_108 Depth=1
	s_or_b64 exec, exec, s[46:47]
	s_add_i32 s49, s49, 8
	s_add_i32 s48, s48, -8
	s_cmp_lt_u32 s49, s73
	v_add_u32_e32 v26, 0x1000, v26
	s_cbranch_scc0 .LBB23_110
.LBB23_108:                             ; =>This Inner Loop Header: Depth=1
	s_and_saveexec_b64 s[46:47], s[44:45]
	s_cbranch_execz .LBB23_107
; %bb.109:                              ;   in Loop: Header=BB23_108 Depth=1
	s_min_u32 s50, s48, 8
	v_lshrrev_b32_e32 v27, s49, v4
	v_bfe_u32 v27, v27, 0, s50
	v_lshl_add_u32 v27, v27, 4, v26
	ds_add_u32 v27, v5
	s_branch .LBB23_107
.LBB23_110:
	;; [unrolled: 24-line block ×22, first 2 shown]
	v_xor_b32_e32 v3, 0x80000000, v3
	v_mov_b32_e32 v4, 1
	s_mov_b32 s4, s72
	s_branch .LBB23_192
.LBB23_191:                             ;   in Loop: Header=BB23_192 Depth=1
	s_or_b64 exec, exec, s[2:3]
	s_add_i32 s4, s4, 8
	s_add_i32 s33, s33, -8
	s_cmp_lt_u32 s4, s73
	v_add_u32_e32 v1, 0x1000, v1
	s_cbranch_scc0 .LBB23_194
.LBB23_192:                             ; =>This Inner Loop Header: Depth=1
	s_and_saveexec_b64 s[2:3], s[0:1]
	s_cbranch_execz .LBB23_191
; %bb.193:                              ;   in Loop: Header=BB23_192 Depth=1
	s_min_u32 s5, s33, 8
	v_lshrrev_b32_e32 v5, s4, v3
	v_bfe_u32 v5, v5, 0, s5
	v_lshl_add_u32 v5, v5, 4, v1
	ds_add_u32 v5, v4
	s_branch .LBB23_191
.LBB23_194:
	s_and_b64 vcc, exec, s[68:69]
	s_waitcnt lgkmcnt(0)
	s_barrier
	s_cbranch_vccz .LBB23_199
; %bb.195:
	s_movk_i32 s0, 0x100
	v_cmp_gt_u32_e32 vcc, s0, v0
	s_waitcnt vmcnt(0)
	v_lshlrev_b32_e32 v1, 4, v0
	v_mov_b32_e32 v5, 0
	v_mov_b32_e32 v4, v0
	s_mov_b32 s2, s72
	s_branch .LBB23_197
.LBB23_196:                             ;   in Loop: Header=BB23_197 Depth=1
	s_or_b64 exec, exec, s[0:1]
	s_add_i32 s2, s2, 8
	v_add_u32_e32 v4, 0x100, v4
	s_cmp_lt_u32 s2, s73
	v_add_u32_e32 v1, 0x1000, v1
	s_cbranch_scc0 .LBB23_199
.LBB23_197:                             ; =>This Inner Loop Header: Depth=1
	s_and_saveexec_b64 s[0:1], vcc
	s_cbranch_execz .LBB23_196
; %bb.198:                              ;   in Loop: Header=BB23_197 Depth=1
	ds_read2_b32 v[6:7], v1 offset1:1
	ds_read2_b32 v[8:9], v1 offset0:2 offset1:3
	v_lshl_add_u64 v[10:11], v[4:5], 3, s[66:67]
	s_waitcnt lgkmcnt(1)
	v_add_u32_e32 v3, v7, v6
	s_waitcnt lgkmcnt(0)
	v_add3_u32 v6, v3, v8, v9
	v_mov_b32_e32 v7, v5
	global_atomic_add_x2 v[10:11], v[6:7], off
	s_branch .LBB23_196
.LBB23_199:
	s_mov_b64 s[0:1], 0
.LBB23_200:
	s_and_b64 vcc, exec, s[0:1]
	s_cbranch_vccz .LBB23_276
; %bb.201:
	s_waitcnt vmcnt(0)
	v_mov_b32_e32 v3, 0
	v_lshl_add_u64 v[4:5], s[74:75], 0, v[2:3]
	v_add_co_u32_e32 v6, vcc, 0x1000, v4
	s_cmp_eq_u32 s72, 0
	s_nop 0
	v_addc_co_u32_e32 v7, vcc, 0, v5, vcc
	v_add_co_u32_e32 v8, vcc, 0x2000, v4
	s_cselect_b64 s[0:1], -1, 0
	s_nop 0
	v_addc_co_u32_e32 v9, vcc, 0, v5, vcc
	v_add_co_u32_e32 v10, vcc, 0x3000, v4
	s_cmp_eq_u32 s73, 32
	s_nop 0
	v_addc_co_u32_e32 v11, vcc, 0, v5, vcc
	v_add_co_u32_e32 v12, vcc, 0x4000, v4
	s_cselect_b64 s[2:3], -1, 0
	s_nop 0
	v_addc_co_u32_e32 v13, vcc, 0, v5, vcc
	v_add_co_u32_e32 v14, vcc, 0x5000, v4
	s_and_b64 s[2:3], s[0:1], s[2:3]
	s_nop 0
	v_addc_co_u32_e32 v15, vcc, 0, v5, vcc
	v_add_co_u32_e32 v16, vcc, 0x6000, v4
	s_mov_b64 s[0:1], -1
	s_nop 0
	v_addc_co_u32_e32 v17, vcc, 0, v5, vcc
	v_add_co_u32_e32 v18, vcc, 0x7000, v4
	s_nop 1
	v_addc_co_u32_e32 v19, vcc, 0, v5, vcc
	v_add_co_u32_e32 v20, vcc, 0x8000, v4
	s_nop 1
	v_addc_co_u32_e32 v21, vcc, 0, v5, vcc
	global_load_dword v36, v[6:7], off
	global_load_dword v35, v[8:9], off
	global_load_dword v34, v[10:11], off
	global_load_dword v33, v[12:13], off
	global_load_dword v32, v[14:15], off
	global_load_dword v30, v[16:17], off
	global_load_dword v28, v[18:19], off
	global_load_dword v26, v[20:21], off
	v_add_co_u32_e32 v6, vcc, 0x9000, v4
	s_nop 1
	v_addc_co_u32_e32 v7, vcc, 0, v5, vcc
	v_add_co_u32_e32 v8, vcc, 0xa000, v4
	s_nop 1
	v_addc_co_u32_e32 v9, vcc, 0, v5, vcc
	v_add_co_u32_e32 v10, vcc, 0xb000, v4
	s_nop 1
	v_addc_co_u32_e32 v11, vcc, 0, v5, vcc
	v_add_co_u32_e32 v12, vcc, 0xc000, v4
	s_nop 1
	v_addc_co_u32_e32 v13, vcc, 0, v5, vcc
	v_add_co_u32_e32 v14, vcc, 0xd000, v4
	s_nop 1
	v_addc_co_u32_e32 v15, vcc, 0, v5, vcc
	v_add_co_u32_e32 v16, vcc, 0xe000, v4
	s_nop 1
	v_addc_co_u32_e32 v17, vcc, 0, v5, vcc
	v_add_co_u32_e32 v38, vcc, 0xf000, v4
	s_nop 1
	v_addc_co_u32_e32 v39, vcc, 0, v5, vcc
	v_add_co_u32_e32 v40, vcc, 0x10000, v4
	s_nop 1
	v_addc_co_u32_e32 v41, vcc, 0, v5, vcc
	global_load_dword v31, v[6:7], off
	global_load_dword v29, v[8:9], off
	global_load_dword v27, v[10:11], off
	global_load_dword v25, v[12:13], off
	global_load_dword v24, v[14:15], off
	global_load_dword v22, v[16:17], off
	global_load_dword v20, v[38:39], off
	global_load_dword v18, v[40:41], off
	v_add_co_u32_e32 v6, vcc, 0x11000, v4
	s_nop 1
	v_addc_co_u32_e32 v7, vcc, 0, v5, vcc
	v_add_co_u32_e32 v8, vcc, 0x12000, v4
	s_nop 1
	v_addc_co_u32_e32 v9, vcc, 0, v5, vcc
	v_add_co_u32_e32 v38, vcc, 0x13000, v4
	s_nop 1
	v_addc_co_u32_e32 v39, vcc, 0, v5, vcc
	v_add_co_u32_e32 v40, vcc, 0x14000, v4
	s_nop 1
	v_addc_co_u32_e32 v41, vcc, 0, v5, vcc
	v_add_co_u32_e32 v42, vcc, 0x15000, v4
	s_nop 1
	v_addc_co_u32_e32 v43, vcc, 0, v5, vcc
	v_add_co_u32_e32 v44, vcc, 0x16000, v4
	;; [unrolled: 32-line block ×3, first 2 shown]
	s_nop 1
	v_addc_co_u32_e32 v49, vcc, 0, v5, vcc
	global_load_dword v14, v[38:39], off
	global_load_dword v12, v[40:41], off
	;; [unrolled: 1-line block ×6, first 2 shown]
	v_add_co_u32_e32 v4, vcc, 0x1f000, v4
	s_nop 1
	v_addc_co_u32_e32 v5, vcc, 0, v5, vcc
	global_load_dword v37, v2, s[74:75]
	global_load_dword v6, v[4:5], off
	s_and_b64 vcc, exec, s[2:3]
	s_cbranch_vccnz .LBB23_273
; %bb.202:
	s_cmp_gt_u32 s73, s72
	s_cselect_b64 s[0:1], -1, 0
	s_cmp_le_u32 s73, s72
	ds_write2st64_b32 v2, v3, v3 offset1:16
	ds_write2st64_b32 v2, v3, v3 offset0:32 offset1:48
	s_waitcnt lgkmcnt(0)
	s_barrier
	s_cbranch_scc1 .LBB23_267
; %bb.203:
	v_and_b32_e32 v1, 3, v0
	v_lshlrev_b32_e32 v1, 2, v1
	s_sub_i32 s2, s73, s72
	s_waitcnt vmcnt(1)
	v_xor_b32_e32 v3, 0x80000000, v37
	v_mov_b32_e32 v4, 1
	s_mov_b32 s3, s2
	v_mov_b32_e32 v5, v1
	s_mov_b32 s4, s72
.LBB23_204:                             ; =>This Inner Loop Header: Depth=1
	s_min_u32 s5, s3, 8
	v_lshrrev_b32_e32 v38, s4, v3
	v_bfe_u32 v38, v38, 0, s5
	v_lshl_add_u32 v38, v38, 4, v5
	ds_add_u32 v38, v4
	s_add_i32 s4, s4, 8
	s_add_i32 s3, s3, -8
	s_cmp_lt_u32 s4, s73
	v_add_u32_e32 v5, 0x1000, v5
	s_cbranch_scc1 .LBB23_204
; %bb.205:
	v_xor_b32_e32 v3, 0x80000000, v36
	v_mov_b32_e32 v4, 1
	s_mov_b32 s3, s2
	v_mov_b32_e32 v5, v1
	s_mov_b32 s4, s72
.LBB23_206:                             ; =>This Inner Loop Header: Depth=1
	s_min_u32 s5, s3, 8
	v_lshrrev_b32_e32 v38, s4, v3
	v_bfe_u32 v38, v38, 0, s5
	v_lshl_add_u32 v38, v38, 4, v5
	ds_add_u32 v38, v4
	s_add_i32 s4, s4, 8
	s_add_i32 s3, s3, -8
	s_cmp_lt_u32 s4, s73
	v_add_u32_e32 v5, 0x1000, v5
	s_cbranch_scc1 .LBB23_206
; %bb.207:
	;; [unrolled: 17-line block ×31, first 2 shown]
	s_waitcnt vmcnt(0)
	v_xor_b32_e32 v3, 0x80000000, v6
	v_mov_b32_e32 v4, 1
	s_mov_b32 s3, s72
.LBB23_266:                             ; =>This Inner Loop Header: Depth=1
	s_min_u32 s4, s2, 8
	v_lshrrev_b32_e32 v5, s3, v3
	v_bfe_u32 v5, v5, 0, s4
	v_lshl_add_u32 v5, v5, 4, v1
	ds_add_u32 v5, v4
	s_add_i32 s3, s3, 8
	s_add_i32 s2, s2, -8
	s_cmp_lt_u32 s3, s73
	v_add_u32_e32 v1, 0x1000, v1
	s_cbranch_scc1 .LBB23_266
.LBB23_267:
	s_and_b64 vcc, exec, s[0:1]
	s_waitcnt lgkmcnt(0)
	s_barrier
	s_cbranch_vccz .LBB23_272
; %bb.268:
	s_movk_i32 s0, 0x100
	v_cmp_gt_u32_e32 vcc, s0, v0
	v_lshlrev_b32_e32 v1, 4, v0
	v_mov_b32_e32 v5, 0
	v_mov_b32_e32 v4, v0
	s_branch .LBB23_270
.LBB23_269:                             ;   in Loop: Header=BB23_270 Depth=1
	s_or_b64 exec, exec, s[0:1]
	s_add_i32 s72, s72, 8
	v_add_u32_e32 v4, 0x100, v4
	s_cmp_ge_u32 s72, s73
	v_add_u32_e32 v1, 0x1000, v1
	s_cbranch_scc1 .LBB23_272
.LBB23_270:                             ; =>This Inner Loop Header: Depth=1
	s_and_saveexec_b64 s[0:1], vcc
	s_cbranch_execz .LBB23_269
; %bb.271:                              ;   in Loop: Header=BB23_270 Depth=1
	ds_read2_b32 v[38:39], v1 offset1:1
	ds_read2_b32 v[40:41], v1 offset0:2 offset1:3
	v_lshl_add_u64 v[42:43], v[4:5], 3, s[66:67]
	s_waitcnt lgkmcnt(1)
	v_add_u32_e32 v3, v39, v38
	s_waitcnt lgkmcnt(0)
	v_add3_u32 v38, v3, v40, v41
	v_mov_b32_e32 v39, v5
	global_atomic_add_x2 v[42:43], v[38:39], off
	s_branch .LBB23_269
.LBB23_272:
	s_mov_b64 s[0:1], 0
.LBB23_273:
	s_and_b64 vcc, exec, s[0:1]
	s_cbranch_vccz .LBB23_276
; %bb.274:
	v_mov_b32_e32 v1, 0
	ds_write2st64_b32 v2, v1, v1 offset1:16
	ds_write2st64_b32 v2, v1, v1 offset0:32 offset1:48
	v_and_b32_e32 v3, 3, v0
	s_waitcnt vmcnt(1)
	v_lshlrev_b32_e32 v2, 2, v37
	s_movk_i32 s0, 0x3fc
	v_and_or_b32 v2, v2, s0, v3
	v_lshlrev_b32_e32 v4, 2, v2
	v_mov_b32_e32 v2, 1
	s_waitcnt lgkmcnt(0)
	s_barrier
	ds_add_u32 v4, v2
	v_bfe_u32 v4, v37, 8, 8
	v_lshl_or_b32 v4, v4, 2, v3
	v_lshlrev_b32_e32 v4, 2, v4
	ds_add_u32 v4, v2 offset:4096
	v_bfe_u32 v4, v37, 16, 8
	v_lshl_or_b32 v4, v4, 2, v3
	v_lshlrev_b32_e32 v4, 2, v4
	ds_add_u32 v4, v2 offset:8192
	v_lshrrev_b32_e32 v5, 24, v37
	v_or_b32_e32 v4, 0xc00, v3
	v_lshl_or_b32 v5, v5, 2, v4
	v_xor_b32_e32 v5, 0x200, v5
	v_lshlrev_b32_e32 v5, 2, v5
	ds_add_u32 v5, v2
	v_lshlrev_b32_e32 v5, 2, v36
	v_and_or_b32 v5, v5, s0, v3
	v_lshlrev_b32_e32 v5, 2, v5
	ds_add_u32 v5, v2
	v_bfe_u32 v5, v36, 8, 8
	v_lshl_or_b32 v5, v5, 2, v3
	v_lshlrev_b32_e32 v5, 2, v5
	ds_add_u32 v5, v2 offset:4096
	v_bfe_u32 v5, v36, 16, 8
	v_lshl_or_b32 v5, v5, 2, v3
	v_lshlrev_b32_e32 v5, 2, v5
	ds_add_u32 v5, v2 offset:8192
	v_lshrrev_b32_e32 v5, 24, v36
	v_lshl_or_b32 v5, v5, 2, v4
	v_xor_b32_e32 v5, 0x200, v5
	v_lshlrev_b32_e32 v5, 2, v5
	ds_add_u32 v5, v2
	v_lshlrev_b32_e32 v5, 2, v35
	v_and_or_b32 v5, v5, s0, v3
	v_lshlrev_b32_e32 v5, 2, v5
	ds_add_u32 v5, v2
	v_bfe_u32 v5, v35, 8, 8
	v_lshl_or_b32 v5, v5, 2, v3
	v_lshlrev_b32_e32 v5, 2, v5
	ds_add_u32 v5, v2 offset:4096
	v_bfe_u32 v5, v35, 16, 8
	v_lshl_or_b32 v5, v5, 2, v3
	v_lshlrev_b32_e32 v5, 2, v5
	ds_add_u32 v5, v2 offset:8192
	v_lshrrev_b32_e32 v5, 24, v35
	;; [unrolled: 17-line block ×30, first 2 shown]
	v_lshl_or_b32 v5, v5, 2, v4
	v_xor_b32_e32 v5, 0x200, v5
	v_lshlrev_b32_e32 v5, 2, v5
	ds_add_u32 v5, v2
	s_waitcnt vmcnt(0)
	v_lshlrev_b32_e32 v5, 2, v6
	v_and_or_b32 v5, v5, s0, v3
	v_lshlrev_b32_e32 v5, 2, v5
	ds_add_u32 v5, v2
	v_bfe_u32 v5, v6, 8, 8
	v_lshl_or_b32 v5, v5, 2, v3
	v_lshlrev_b32_e32 v5, 2, v5
	ds_add_u32 v5, v2 offset:4096
	v_bfe_u32 v5, v6, 16, 8
	v_lshl_or_b32 v3, v5, 2, v3
	v_lshlrev_b32_e32 v3, 2, v3
	ds_add_u32 v3, v2 offset:8192
	v_lshrrev_b32_e32 v3, 24, v6
	v_lshl_or_b32 v3, v3, 2, v4
	v_xor_b32_e32 v3, 0x200, v3
	v_lshlrev_b32_e32 v3, 2, v3
	ds_add_u32 v3, v2
	s_movk_i32 s0, 0x100
	v_cmp_gt_u32_e32 vcc, s0, v0
	s_waitcnt lgkmcnt(0)
	s_barrier
	s_and_saveexec_b64 s[0:1], vcc
	s_cbranch_execz .LBB23_276
; %bb.275:
	v_lshlrev_b32_e32 v6, 4, v0
	ds_read2_b32 v[2:3], v6 offset1:1
	ds_read2_b32 v[4:5], v6 offset0:2 offset1:3
	v_lshlrev_b32_e32 v7, 3, v0
	v_add_u32_e32 v8, 0x1000, v6
	v_add_u32_e32 v9, 0x1008, v6
	s_waitcnt lgkmcnt(1)
	v_add_u32_e32 v0, v3, v2
	s_waitcnt lgkmcnt(0)
	v_add3_u32 v0, v0, v4, v5
	global_atomic_add_x2 v7, v[0:1], s[66:67]
	ds_read2_b32 v[2:3], v8 offset1:1
	ds_read2_b32 v[4:5], v9 offset1:1
	v_add_u32_e32 v8, 0x2000, v6
	v_add_u32_e32 v9, 0x2008, v6
	s_waitcnt lgkmcnt(1)
	v_add_u32_e32 v0, v3, v2
	s_waitcnt lgkmcnt(0)
	v_add3_u32 v0, v0, v4, v5
	global_atomic_add_x2 v7, v[0:1], s[66:67] offset:2048
	ds_read2_b32 v[2:3], v8 offset1:1
	ds_read2_b32 v[4:5], v9 offset1:1
	v_or_b32_e32 v8, 0x1000, v7
	v_add_u32_e32 v9, 0x3000, v6
	v_add_u32_e32 v6, 0x3008, v6
	s_waitcnt lgkmcnt(1)
	v_add_u32_e32 v0, v3, v2
	s_waitcnt lgkmcnt(0)
	v_add3_u32 v0, v0, v4, v5
	global_atomic_add_x2 v8, v[0:1], s[66:67]
	ds_read2_b32 v[2:3], v9 offset1:1
	ds_read2_b32 v[4:5], v6 offset1:1
	s_waitcnt lgkmcnt(1)
	v_add_u32_e32 v0, v3, v2
	s_waitcnt lgkmcnt(0)
	v_add3_u32 v0, v0, v4, v5
	v_or_b32_e32 v2, 0x1800, v7
	global_atomic_add_x2 v2, v[0:1], s[66:67]
.LBB23_276:
	s_endpgm
	.section	.rodata,"a",@progbits
	.p2align	6, 0x0
	.amdhsa_kernel _ZN7rocprim17ROCPRIM_304000_NS6detail26onesweep_histograms_kernelINS1_34wrapped_radix_sort_onesweep_configINS0_14default_configEiN2at4cuda3cub6detail10OpaqueTypeILi1EEEEELb0EPKimNS0_19identity_decomposerEEEvT1_PT2_SG_SG_T3_jj
		.amdhsa_group_segment_fixed_size 16384
		.amdhsa_private_segment_fixed_size 0
		.amdhsa_kernarg_size 44
		.amdhsa_user_sgpr_count 2
		.amdhsa_user_sgpr_dispatch_ptr 0
		.amdhsa_user_sgpr_queue_ptr 0
		.amdhsa_user_sgpr_kernarg_segment_ptr 1
		.amdhsa_user_sgpr_dispatch_id 0
		.amdhsa_user_sgpr_kernarg_preload_length 0
		.amdhsa_user_sgpr_kernarg_preload_offset 0
		.amdhsa_user_sgpr_private_segment_size 0
		.amdhsa_uses_dynamic_stack 0
		.amdhsa_enable_private_segment 0
		.amdhsa_system_sgpr_workgroup_id_x 1
		.amdhsa_system_sgpr_workgroup_id_y 0
		.amdhsa_system_sgpr_workgroup_id_z 0
		.amdhsa_system_sgpr_workgroup_info 0
		.amdhsa_system_vgpr_workitem_id 0
		.amdhsa_next_free_vgpr 50
		.amdhsa_next_free_sgpr 79
		.amdhsa_accum_offset 52
		.amdhsa_reserve_vcc 1
		.amdhsa_float_round_mode_32 0
		.amdhsa_float_round_mode_16_64 0
		.amdhsa_float_denorm_mode_32 3
		.amdhsa_float_denorm_mode_16_64 3
		.amdhsa_dx10_clamp 1
		.amdhsa_ieee_mode 1
		.amdhsa_fp16_overflow 0
		.amdhsa_tg_split 0
		.amdhsa_exception_fp_ieee_invalid_op 0
		.amdhsa_exception_fp_denorm_src 0
		.amdhsa_exception_fp_ieee_div_zero 0
		.amdhsa_exception_fp_ieee_overflow 0
		.amdhsa_exception_fp_ieee_underflow 0
		.amdhsa_exception_fp_ieee_inexact 0
		.amdhsa_exception_int_div_zero 0
	.end_amdhsa_kernel
	.section	.text._ZN7rocprim17ROCPRIM_304000_NS6detail26onesweep_histograms_kernelINS1_34wrapped_radix_sort_onesweep_configINS0_14default_configEiN2at4cuda3cub6detail10OpaqueTypeILi1EEEEELb0EPKimNS0_19identity_decomposerEEEvT1_PT2_SG_SG_T3_jj,"axG",@progbits,_ZN7rocprim17ROCPRIM_304000_NS6detail26onesweep_histograms_kernelINS1_34wrapped_radix_sort_onesweep_configINS0_14default_configEiN2at4cuda3cub6detail10OpaqueTypeILi1EEEEELb0EPKimNS0_19identity_decomposerEEEvT1_PT2_SG_SG_T3_jj,comdat
.Lfunc_end23:
	.size	_ZN7rocprim17ROCPRIM_304000_NS6detail26onesweep_histograms_kernelINS1_34wrapped_radix_sort_onesweep_configINS0_14default_configEiN2at4cuda3cub6detail10OpaqueTypeILi1EEEEELb0EPKimNS0_19identity_decomposerEEEvT1_PT2_SG_SG_T3_jj, .Lfunc_end23-_ZN7rocprim17ROCPRIM_304000_NS6detail26onesweep_histograms_kernelINS1_34wrapped_radix_sort_onesweep_configINS0_14default_configEiN2at4cuda3cub6detail10OpaqueTypeILi1EEEEELb0EPKimNS0_19identity_decomposerEEEvT1_PT2_SG_SG_T3_jj
                                        ; -- End function
	.section	.AMDGPU.csdata,"",@progbits
; Kernel info:
; codeLenInByte = 12608
; NumSgprs: 85
; NumVgprs: 50
; NumAgprs: 0
; TotalNumVgprs: 50
; ScratchSize: 0
; MemoryBound: 0
; FloatMode: 240
; IeeeMode: 1
; LDSByteSize: 16384 bytes/workgroup (compile time only)
; SGPRBlocks: 10
; VGPRBlocks: 6
; NumSGPRsForWavesPerEU: 85
; NumVGPRsForWavesPerEU: 50
; AccumOffset: 52
; Occupancy: 8
; WaveLimiterHint : 1
; COMPUTE_PGM_RSRC2:SCRATCH_EN: 0
; COMPUTE_PGM_RSRC2:USER_SGPR: 2
; COMPUTE_PGM_RSRC2:TRAP_HANDLER: 0
; COMPUTE_PGM_RSRC2:TGID_X_EN: 1
; COMPUTE_PGM_RSRC2:TGID_Y_EN: 0
; COMPUTE_PGM_RSRC2:TGID_Z_EN: 0
; COMPUTE_PGM_RSRC2:TIDIG_COMP_CNT: 0
; COMPUTE_PGM_RSRC3_GFX90A:ACCUM_OFFSET: 12
; COMPUTE_PGM_RSRC3_GFX90A:TG_SPLIT: 0
	.section	.text._ZN7rocprim17ROCPRIM_304000_NS6detail25onesweep_iteration_kernelINS1_34wrapped_radix_sort_onesweep_configINS0_14default_configEiN2at4cuda3cub6detail10OpaqueTypeILi1EEEEELb0EPKiPiPKSA_PSA_mNS0_19identity_decomposerEEEvT1_T2_T3_T4_jPT5_SO_PNS1_23onesweep_lookback_stateET6_jjj,"axG",@progbits,_ZN7rocprim17ROCPRIM_304000_NS6detail25onesweep_iteration_kernelINS1_34wrapped_radix_sort_onesweep_configINS0_14default_configEiN2at4cuda3cub6detail10OpaqueTypeILi1EEEEELb0EPKiPiPKSA_PSA_mNS0_19identity_decomposerEEEvT1_T2_T3_T4_jPT5_SO_PNS1_23onesweep_lookback_stateET6_jjj,comdat
	.protected	_ZN7rocprim17ROCPRIM_304000_NS6detail25onesweep_iteration_kernelINS1_34wrapped_radix_sort_onesweep_configINS0_14default_configEiN2at4cuda3cub6detail10OpaqueTypeILi1EEEEELb0EPKiPiPKSA_PSA_mNS0_19identity_decomposerEEEvT1_T2_T3_T4_jPT5_SO_PNS1_23onesweep_lookback_stateET6_jjj ; -- Begin function _ZN7rocprim17ROCPRIM_304000_NS6detail25onesweep_iteration_kernelINS1_34wrapped_radix_sort_onesweep_configINS0_14default_configEiN2at4cuda3cub6detail10OpaqueTypeILi1EEEEELb0EPKiPiPKSA_PSA_mNS0_19identity_decomposerEEEvT1_T2_T3_T4_jPT5_SO_PNS1_23onesweep_lookback_stateET6_jjj
	.globl	_ZN7rocprim17ROCPRIM_304000_NS6detail25onesweep_iteration_kernelINS1_34wrapped_radix_sort_onesweep_configINS0_14default_configEiN2at4cuda3cub6detail10OpaqueTypeILi1EEEEELb0EPKiPiPKSA_PSA_mNS0_19identity_decomposerEEEvT1_T2_T3_T4_jPT5_SO_PNS1_23onesweep_lookback_stateET6_jjj
	.p2align	8
	.type	_ZN7rocprim17ROCPRIM_304000_NS6detail25onesweep_iteration_kernelINS1_34wrapped_radix_sort_onesweep_configINS0_14default_configEiN2at4cuda3cub6detail10OpaqueTypeILi1EEEEELb0EPKiPiPKSA_PSA_mNS0_19identity_decomposerEEEvT1_T2_T3_T4_jPT5_SO_PNS1_23onesweep_lookback_stateET6_jjj,@function
_ZN7rocprim17ROCPRIM_304000_NS6detail25onesweep_iteration_kernelINS1_34wrapped_radix_sort_onesweep_configINS0_14default_configEiN2at4cuda3cub6detail10OpaqueTypeILi1EEEEELb0EPKiPiPKSA_PSA_mNS0_19identity_decomposerEEEvT1_T2_T3_T4_jPT5_SO_PNS1_23onesweep_lookback_stateET6_jjj: ; @_ZN7rocprim17ROCPRIM_304000_NS6detail25onesweep_iteration_kernelINS1_34wrapped_radix_sort_onesweep_configINS0_14default_configEiN2at4cuda3cub6detail10OpaqueTypeILi1EEEEELb0EPKiPiPKSA_PSA_mNS0_19identity_decomposerEEEvT1_T2_T3_T4_jPT5_SO_PNS1_23onesweep_lookback_stateET6_jjj
; %bb.0:
	s_load_dwordx4 s[68:71], s[0:1], 0x44
	s_load_dwordx8 s[56:63], s[0:1], 0x0
	s_load_dwordx4 s[64:67], s[0:1], 0x28
	s_load_dwordx2 s[72:73], s[0:1], 0x38
	s_mul_i32 s54, s2, 0x3000
	s_waitcnt lgkmcnt(0)
	s_cmp_ge_u32 s2, s70
	v_mbcnt_lo_u32_b32 v1, -1, 0
	s_cbranch_scc0 .LBB24_135
; %bb.1:
	s_load_dword s3, s[0:1], 0x20
	s_mul_i32 s6, s70, 0xffffd000
	s_mov_b32 s55, 0
	v_and_b32_e32 v2, 0x3ff, v0
	s_lshl_b64 s[4:5], s[54:55], 2
	s_waitcnt lgkmcnt(0)
	s_add_i32 s55, s6, s3
	s_add_u32 s4, s56, s4
	v_mbcnt_hi_u32_b32 v4, -1, v1
	v_and_b32_e32 v3, 0x3c0, v2
	v_mov_b32_e32 v5, 0
	s_addc_u32 s5, s57, s5
	v_mul_u32_u24_e32 v6, 12, v3
	v_lshlrev_b32_e32 v8, 2, v4
	v_mov_b32_e32 v9, v5
	v_lshl_add_u64 v[8:9], s[4:5], 0, v[8:9]
	v_lshlrev_b32_e32 v10, 2, v6
	v_mov_b32_e32 v11, v5
	v_or_b32_e32 v7, v4, v6
	v_lshl_add_u64 v[8:9], v[8:9], 0, v[10:11]
	v_cmp_gt_u32_e32 vcc, s55, v7
	v_bfrev_b32_e32 v13, -2
	v_bfrev_b32_e32 v3, -2
	s_and_saveexec_b64 s[4:5], vcc
	s_cbranch_execz .LBB24_3
; %bb.2:
	global_load_dword v3, v[8:9], off
.LBB24_3:
	s_or_b64 exec, exec, s[4:5]
	v_add_u32_e32 v10, 64, v7
	v_cmp_gt_u32_e64 s[52:53], s55, v10
	s_and_saveexec_b64 s[4:5], s[52:53]
	s_cbranch_execz .LBB24_5
; %bb.4:
	global_load_dword v13, v[8:9], off offset:256
.LBB24_5:
	s_or_b64 exec, exec, s[4:5]
	v_add_u32_e32 v10, 0x80, v7
	v_cmp_gt_u32_e64 s[4:5], s55, v10
	v_bfrev_b32_e32 v23, -2
	v_bfrev_b32_e32 v18, -2
	s_and_saveexec_b64 s[6:7], s[4:5]
	s_cbranch_execz .LBB24_7
; %bb.6:
	global_load_dword v18, v[8:9], off offset:512
.LBB24_7:
	s_or_b64 exec, exec, s[6:7]
	v_add_u32_e32 v10, 0xc0, v7
	v_cmp_gt_u32_e64 s[6:7], s55, v10
	s_and_saveexec_b64 s[8:9], s[6:7]
	s_cbranch_execz .LBB24_9
; %bb.8:
	global_load_dword v23, v[8:9], off offset:768
.LBB24_9:
	s_or_b64 exec, exec, s[8:9]
	v_add_u32_e32 v10, 0x100, v7
	v_cmp_gt_u32_e64 s[8:9], s55, v10
	v_bfrev_b32_e32 v34, -2
	v_bfrev_b32_e32 v29, -2
	s_and_saveexec_b64 s[10:11], s[8:9]
	s_cbranch_execz .LBB24_11
; %bb.10:
	global_load_dword v29, v[8:9], off offset:1024
.LBB24_11:
	;; [unrolled: 18-line block ×5, first 2 shown]
	s_or_b64 exec, exec, s[22:23]
	v_add_u32_e32 v7, 0x2c0, v7
	v_cmp_gt_u32_e64 s[22:23], s55, v7
	s_and_saveexec_b64 s[24:25], s[22:23]
	s_cbranch_execz .LBB24_25
; %bb.24:
	global_load_dword v12, v[8:9], off offset:2816
.LBB24_25:
	s_or_b64 exec, exec, s[24:25]
	s_load_dword s24, s[0:1], 0x5c
	s_load_dword s3, s[0:1], 0x50
	s_add_u32 s25, s0, 0x50
	s_addc_u32 s26, s1, 0
	v_mov_b32_e32 v9, 0
	s_waitcnt lgkmcnt(0)
	s_lshr_b32 s27, s24, 16
	s_cmp_lt_u32 s2, s3
	s_cselect_b32 s24, 12, 18
	s_add_u32 s24, s25, s24
	s_addc_u32 s25, s26, 0
	global_load_ushort v19, v9, s[24:25]
	s_waitcnt vmcnt(1)
	v_xor_b32_e32 v3, 0x80000000, v3
	s_lshl_b32 s24, -1, s69
	v_lshrrev_b32_e32 v15, s68, v3
	s_not_b32 s33, s24
	v_bfe_u32 v8, v0, 10, 10
	v_bfe_u32 v11, v0, 20, 10
	v_and_b32_e32 v22, s33, v15
	v_mad_u32_u24 v20, v11, s27, v8
	v_and_b32_e32 v8, 1, v22
	v_lshlrev_b32_e32 v11, 30, v22
	v_mov_b32_e32 v10, v9
	v_mov_b32_e32 v16, v9
	v_lshlrev_b32_e32 v15, 29, v22
	v_lshlrev_b32_e32 v17, 28, v22
	v_lshl_add_u64 v[42:43], v[8:9], 0, -1
	v_cmp_ne_u32_e64 s[24:25], 0, v8
	v_not_b32_e32 v8, v11
	v_mov_b32_e32 v14, v9
	v_mov_b32_e32 v24, v9
	v_lshlrev_b32_e32 v25, 27, v22
	v_cmp_gt_i64_e64 s[26:27], 0, v[10:11]
	v_not_b32_e32 v10, v15
	v_cmp_gt_i64_e64 s[30:31], 0, v[16:17]
	v_not_b32_e32 v11, v17
	v_xor_b32_e32 v17, s25, v43
	v_ashrrev_i32_e32 v8, 31, v8
	v_cmp_gt_i64_e64 s[28:29], 0, v[14:15]
	v_cmp_gt_i64_e64 s[34:35], 0, v[24:25]
	v_not_b32_e32 v14, v25
	v_xor_b32_e32 v24, s24, v42
	v_ashrrev_i32_e32 v10, 31, v10
	v_and_b32_e32 v17, exec_hi, v17
	v_xor_b32_e32 v25, s27, v8
	v_mov_b32_e32 v30, v9
	v_lshlrev_b32_e32 v31, 26, v22
	v_ashrrev_i32_e32 v11, 31, v11
	v_and_b32_e32 v24, exec_lo, v24
	v_xor_b32_e32 v8, s26, v8
	v_xor_b32_e32 v26, s29, v10
	v_and_b32_e32 v17, v17, v25
	v_lshlrev_b32_e32 v41, 25, v22
	v_cmp_gt_i64_e64 s[36:37], 0, v[30:31]
	v_not_b32_e32 v15, v31
	v_ashrrev_i32_e32 v14, 31, v14
	v_xor_b32_e32 v10, s28, v10
	v_xor_b32_e32 v30, s31, v11
	v_and_b32_e32 v8, v24, v8
	v_and_b32_e32 v17, v17, v26
	v_mov_b32_e32 v40, v9
	v_not_b32_e32 v16, v41
	v_ashrrev_i32_e32 v15, 31, v15
	v_xor_b32_e32 v31, s35, v14
	v_and_b32_e32 v8, v8, v10
	v_and_b32_e32 v10, v17, v30
	v_cmp_gt_i64_e64 s[38:39], 0, v[40:41]
	v_ashrrev_i32_e32 v16, 31, v16
	v_xor_b32_e32 v11, s30, v11
	v_xor_b32_e32 v33, s37, v15
	v_and_b32_e32 v10, v10, v31
	v_xor_b32_e32 v14, s34, v14
	v_xor_b32_e32 v35, s39, v16
	v_and_b32_e32 v8, v8, v11
	v_and_b32_e32 v10, v10, v33
	;; [unrolled: 1-line block ×4, first 2 shown]
	v_xor_b32_e32 v15, s36, v15
	v_xor_b32_e32 v16, s38, v16
	v_and_b32_e32 v8, v8, v15
	v_and_b32_e32 v8, v8, v16
	v_mul_u32_u24_e32 v7, 5, v2
	v_lshl_add_u32 v28, v22, 4, v22
	v_lshlrev_b32_e32 v7, 2, v7
	ds_write2_b32 v7, v9, v9 offset0:16 offset1:17
	ds_write2_b32 v7, v9, v9 offset0:18 offset1:19
	ds_write_b32 v7, v9 offset:80
	s_waitcnt lgkmcnt(0)
	s_barrier
	s_waitcnt lgkmcnt(0)
	; wave barrier
	s_waitcnt vmcnt(0)
	v_mad_u64_u32 v[10:11], s[24:25], v20, v19, v[2:3]
	v_lshrrev_b32_e32 v26, 6, v10
	v_lshlrev_b32_e32 v11, 24, v22
	v_mov_b32_e32 v10, v9
	v_cmp_gt_i64_e64 s[24:25], 0, v[10:11]
	v_not_b32_e32 v10, v11
	v_ashrrev_i32_e32 v10, 31, v10
	v_xor_b32_e32 v11, s25, v10
	v_xor_b32_e32 v10, s24, v10
	v_and_b32_e32 v10, v8, v10
	v_and_b32_e32 v11, v14, v11
	v_mbcnt_lo_u32_b32 v8, v10, 0
	v_mbcnt_hi_u32_b32 v14, v11, v8
	v_cmp_eq_u32_e64 s[24:25], 0, v14
	v_cmp_ne_u64_e64 s[26:27], 0, v[10:11]
	v_add_lshl_u32 v16, v26, v28, 2
	s_and_b64 s[26:27], s[26:27], s[24:25]
	s_and_saveexec_b64 s[24:25], s[26:27]
	s_cbranch_execz .LBB24_27
; %bb.26:
	v_bcnt_u32_b32 v8, v10, 0
	v_bcnt_u32_b32 v8, v11, v8
	ds_write_b32 v16, v8 offset:64
.LBB24_27:
	s_or_b64 exec, exec, s[24:25]
	v_xor_b32_e32 v13, 0x80000000, v13
	v_lshrrev_b32_e32 v8, s68, v13
	v_and_b32_e32 v19, s33, v8
	v_lshl_add_u32 v8, v19, 4, v19
	v_add_lshl_u32 v17, v26, v8, 2
	v_and_b32_e32 v8, 1, v19
	v_lshl_add_u64 v[10:11], v[8:9], 0, -1
	v_cmp_ne_u32_e64 s[24:25], 0, v8
	; wave barrier
	s_nop 1
	v_xor_b32_e32 v10, s24, v10
	v_xor_b32_e32 v8, s25, v11
	v_and_b32_e32 v20, exec_lo, v10
	v_lshlrev_b32_e32 v11, 30, v19
	v_mov_b32_e32 v10, v9
	v_cmp_gt_i64_e64 s[24:25], 0, v[10:11]
	v_not_b32_e32 v10, v11
	v_ashrrev_i32_e32 v10, 31, v10
	v_and_b32_e32 v8, exec_hi, v8
	v_xor_b32_e32 v11, s25, v10
	v_xor_b32_e32 v10, s24, v10
	v_and_b32_e32 v8, v8, v11
	v_and_b32_e32 v20, v20, v10
	v_lshlrev_b32_e32 v11, 29, v19
	v_mov_b32_e32 v10, v9
	v_cmp_gt_i64_e64 s[24:25], 0, v[10:11]
	v_not_b32_e32 v10, v11
	v_ashrrev_i32_e32 v10, 31, v10
	v_xor_b32_e32 v11, s25, v10
	v_xor_b32_e32 v10, s24, v10
	v_and_b32_e32 v8, v8, v11
	v_and_b32_e32 v20, v20, v10
	v_lshlrev_b32_e32 v11, 28, v19
	v_mov_b32_e32 v10, v9
	v_cmp_gt_i64_e64 s[24:25], 0, v[10:11]
	v_not_b32_e32 v10, v11
	v_ashrrev_i32_e32 v10, 31, v10
	;; [unrolled: 9-line block ×5, first 2 shown]
	v_xor_b32_e32 v11, s25, v10
	v_xor_b32_e32 v10, s24, v10
	v_and_b32_e32 v8, v8, v11
	v_lshlrev_b32_e32 v11, 24, v19
	v_and_b32_e32 v20, v20, v10
	v_mov_b32_e32 v10, v9
	v_not_b32_e32 v9, v11
	v_cmp_gt_i64_e64 s[24:25], 0, v[10:11]
	v_ashrrev_i32_e32 v9, 31, v9
	ds_read_b32 v15, v17 offset:64
	v_xor_b32_e32 v10, s25, v9
	v_xor_b32_e32 v11, s24, v9
	v_and_b32_e32 v9, v8, v10
	v_and_b32_e32 v8, v20, v11
	v_mbcnt_lo_u32_b32 v10, v8, 0
	v_mbcnt_hi_u32_b32 v19, v9, v10
	v_cmp_eq_u32_e64 s[24:25], 0, v19
	v_cmp_ne_u64_e64 s[26:27], 0, v[8:9]
	s_and_b64 s[26:27], s[26:27], s[24:25]
	; wave barrier
	s_and_saveexec_b64 s[24:25], s[26:27]
	s_cbranch_execz .LBB24_29
; %bb.28:
	v_bcnt_u32_b32 v8, v8, 0
	v_bcnt_u32_b32 v8, v9, v8
	s_waitcnt lgkmcnt(0)
	v_add_u32_e32 v8, v15, v8
	ds_write_b32 v17, v8 offset:64
.LBB24_29:
	s_or_b64 exec, exec, s[24:25]
	v_xor_b32_e32 v18, 0x80000000, v18
	v_lshrrev_b32_e32 v8, s68, v18
	v_and_b32_e32 v24, s33, v8
	v_lshl_add_u32 v8, v24, 4, v24
	v_add_lshl_u32 v22, v26, v8, 2
	v_and_b32_e32 v8, 1, v24
	v_mov_b32_e32 v9, 0
	v_lshl_add_u64 v[10:11], v[8:9], 0, -1
	v_cmp_ne_u32_e64 s[24:25], 0, v8
	; wave barrier
	s_nop 1
	v_xor_b32_e32 v10, s24, v10
	v_xor_b32_e32 v8, s25, v11
	v_and_b32_e32 v25, exec_lo, v10
	v_lshlrev_b32_e32 v11, 30, v24
	v_mov_b32_e32 v10, v9
	v_cmp_gt_i64_e64 s[24:25], 0, v[10:11]
	v_not_b32_e32 v10, v11
	v_ashrrev_i32_e32 v10, 31, v10
	v_and_b32_e32 v8, exec_hi, v8
	v_xor_b32_e32 v11, s25, v10
	v_xor_b32_e32 v10, s24, v10
	v_and_b32_e32 v8, v8, v11
	v_and_b32_e32 v25, v25, v10
	v_lshlrev_b32_e32 v11, 29, v24
	v_mov_b32_e32 v10, v9
	v_cmp_gt_i64_e64 s[24:25], 0, v[10:11]
	v_not_b32_e32 v10, v11
	v_ashrrev_i32_e32 v10, 31, v10
	v_xor_b32_e32 v11, s25, v10
	v_xor_b32_e32 v10, s24, v10
	v_and_b32_e32 v8, v8, v11
	v_and_b32_e32 v25, v25, v10
	v_lshlrev_b32_e32 v11, 28, v24
	v_mov_b32_e32 v10, v9
	v_cmp_gt_i64_e64 s[24:25], 0, v[10:11]
	v_not_b32_e32 v10, v11
	v_ashrrev_i32_e32 v10, 31, v10
	;; [unrolled: 9-line block ×6, first 2 shown]
	v_xor_b32_e32 v11, s25, v10
	v_xor_b32_e32 v10, s24, v10
	ds_read_b32 v20, v22 offset:64
	v_and_b32_e32 v10, v25, v10
	v_and_b32_e32 v11, v8, v11
	v_mbcnt_lo_u32_b32 v8, v10, 0
	v_mbcnt_hi_u32_b32 v24, v11, v8
	v_cmp_eq_u32_e64 s[24:25], 0, v24
	v_cmp_ne_u64_e64 s[26:27], 0, v[10:11]
	s_and_b64 s[26:27], s[26:27], s[24:25]
	; wave barrier
	s_and_saveexec_b64 s[24:25], s[26:27]
	s_cbranch_execz .LBB24_31
; %bb.30:
	v_bcnt_u32_b32 v8, v10, 0
	v_bcnt_u32_b32 v8, v11, v8
	s_waitcnt lgkmcnt(0)
	v_add_u32_e32 v8, v20, v8
	ds_write_b32 v22, v8 offset:64
.LBB24_31:
	s_or_b64 exec, exec, s[24:25]
	v_xor_b32_e32 v23, 0x80000000, v23
	v_lshrrev_b32_e32 v8, s68, v23
	v_and_b32_e32 v30, s33, v8
	v_lshl_add_u32 v8, v30, 4, v30
	v_add_lshl_u32 v28, v26, v8, 2
	v_and_b32_e32 v8, 1, v30
	v_lshl_add_u64 v[10:11], v[8:9], 0, -1
	v_cmp_ne_u32_e64 s[24:25], 0, v8
	; wave barrier
	s_nop 1
	v_xor_b32_e32 v10, s24, v10
	v_xor_b32_e32 v8, s25, v11
	v_and_b32_e32 v31, exec_lo, v10
	v_lshlrev_b32_e32 v11, 30, v30
	v_mov_b32_e32 v10, v9
	v_cmp_gt_i64_e64 s[24:25], 0, v[10:11]
	v_not_b32_e32 v10, v11
	v_ashrrev_i32_e32 v10, 31, v10
	v_and_b32_e32 v8, exec_hi, v8
	v_xor_b32_e32 v11, s25, v10
	v_xor_b32_e32 v10, s24, v10
	v_and_b32_e32 v8, v8, v11
	v_and_b32_e32 v31, v31, v10
	v_lshlrev_b32_e32 v11, 29, v30
	v_mov_b32_e32 v10, v9
	v_cmp_gt_i64_e64 s[24:25], 0, v[10:11]
	v_not_b32_e32 v10, v11
	v_ashrrev_i32_e32 v10, 31, v10
	v_xor_b32_e32 v11, s25, v10
	v_xor_b32_e32 v10, s24, v10
	v_and_b32_e32 v8, v8, v11
	v_and_b32_e32 v31, v31, v10
	v_lshlrev_b32_e32 v11, 28, v30
	v_mov_b32_e32 v10, v9
	v_cmp_gt_i64_e64 s[24:25], 0, v[10:11]
	v_not_b32_e32 v10, v11
	v_ashrrev_i32_e32 v10, 31, v10
	;; [unrolled: 9-line block ×5, first 2 shown]
	v_xor_b32_e32 v11, s25, v10
	v_xor_b32_e32 v10, s24, v10
	v_and_b32_e32 v8, v8, v11
	v_lshlrev_b32_e32 v11, 24, v30
	v_and_b32_e32 v31, v31, v10
	v_mov_b32_e32 v10, v9
	v_not_b32_e32 v9, v11
	v_cmp_gt_i64_e64 s[24:25], 0, v[10:11]
	v_ashrrev_i32_e32 v9, 31, v9
	ds_read_b32 v25, v28 offset:64
	v_xor_b32_e32 v10, s25, v9
	v_xor_b32_e32 v11, s24, v9
	v_and_b32_e32 v9, v8, v10
	v_and_b32_e32 v8, v31, v11
	v_mbcnt_lo_u32_b32 v10, v8, 0
	v_mbcnt_hi_u32_b32 v30, v9, v10
	v_cmp_eq_u32_e64 s[24:25], 0, v30
	v_cmp_ne_u64_e64 s[26:27], 0, v[8:9]
	s_and_b64 s[26:27], s[26:27], s[24:25]
	; wave barrier
	s_and_saveexec_b64 s[24:25], s[26:27]
	s_cbranch_execz .LBB24_33
; %bb.32:
	v_bcnt_u32_b32 v8, v8, 0
	v_bcnt_u32_b32 v8, v9, v8
	s_waitcnt lgkmcnt(0)
	v_add_u32_e32 v8, v25, v8
	ds_write_b32 v28, v8 offset:64
.LBB24_33:
	s_or_b64 exec, exec, s[24:25]
	v_xor_b32_e32 v29, 0x80000000, v29
	v_lshrrev_b32_e32 v8, s68, v29
	v_and_b32_e32 v35, s33, v8
	v_lshl_add_u32 v8, v35, 4, v35
	v_add_lshl_u32 v33, v26, v8, 2
	v_and_b32_e32 v8, 1, v35
	v_mov_b32_e32 v9, 0
	v_lshl_add_u64 v[10:11], v[8:9], 0, -1
	v_cmp_ne_u32_e64 s[24:25], 0, v8
	; wave barrier
	s_nop 1
	v_xor_b32_e32 v10, s24, v10
	v_xor_b32_e32 v8, s25, v11
	v_and_b32_e32 v37, exec_lo, v10
	v_lshlrev_b32_e32 v11, 30, v35
	v_mov_b32_e32 v10, v9
	v_cmp_gt_i64_e64 s[24:25], 0, v[10:11]
	v_not_b32_e32 v10, v11
	v_ashrrev_i32_e32 v10, 31, v10
	v_and_b32_e32 v8, exec_hi, v8
	v_xor_b32_e32 v11, s25, v10
	v_xor_b32_e32 v10, s24, v10
	v_and_b32_e32 v8, v8, v11
	v_and_b32_e32 v37, v37, v10
	v_lshlrev_b32_e32 v11, 29, v35
	v_mov_b32_e32 v10, v9
	v_cmp_gt_i64_e64 s[24:25], 0, v[10:11]
	v_not_b32_e32 v10, v11
	v_ashrrev_i32_e32 v10, 31, v10
	v_xor_b32_e32 v11, s25, v10
	v_xor_b32_e32 v10, s24, v10
	v_and_b32_e32 v8, v8, v11
	v_and_b32_e32 v37, v37, v10
	v_lshlrev_b32_e32 v11, 28, v35
	v_mov_b32_e32 v10, v9
	v_cmp_gt_i64_e64 s[24:25], 0, v[10:11]
	v_not_b32_e32 v10, v11
	v_ashrrev_i32_e32 v10, 31, v10
	;; [unrolled: 9-line block ×6, first 2 shown]
	v_xor_b32_e32 v11, s25, v10
	v_xor_b32_e32 v10, s24, v10
	ds_read_b32 v31, v33 offset:64
	v_and_b32_e32 v10, v37, v10
	v_and_b32_e32 v11, v8, v11
	v_mbcnt_lo_u32_b32 v8, v10, 0
	v_mbcnt_hi_u32_b32 v35, v11, v8
	v_cmp_eq_u32_e64 s[24:25], 0, v35
	v_cmp_ne_u64_e64 s[26:27], 0, v[10:11]
	s_and_b64 s[26:27], s[26:27], s[24:25]
	; wave barrier
	s_and_saveexec_b64 s[24:25], s[26:27]
	s_cbranch_execz .LBB24_35
; %bb.34:
	v_bcnt_u32_b32 v8, v10, 0
	v_bcnt_u32_b32 v8, v11, v8
	s_waitcnt lgkmcnt(0)
	v_add_u32_e32 v8, v31, v8
	ds_write_b32 v33, v8 offset:64
.LBB24_35:
	s_or_b64 exec, exec, s[24:25]
	v_xor_b32_e32 v34, 0x80000000, v34
	v_lshrrev_b32_e32 v8, s68, v34
	v_and_b32_e32 v40, s33, v8
	v_lshl_add_u32 v8, v40, 4, v40
	v_add_lshl_u32 v38, v26, v8, 2
	v_and_b32_e32 v8, 1, v40
	v_lshl_add_u64 v[10:11], v[8:9], 0, -1
	v_cmp_ne_u32_e64 s[24:25], 0, v8
	; wave barrier
	s_nop 1
	v_xor_b32_e32 v10, s24, v10
	v_xor_b32_e32 v8, s25, v11
	v_and_b32_e32 v41, exec_lo, v10
	v_lshlrev_b32_e32 v11, 30, v40
	v_mov_b32_e32 v10, v9
	v_cmp_gt_i64_e64 s[24:25], 0, v[10:11]
	v_not_b32_e32 v10, v11
	v_ashrrev_i32_e32 v10, 31, v10
	v_and_b32_e32 v8, exec_hi, v8
	v_xor_b32_e32 v11, s25, v10
	v_xor_b32_e32 v10, s24, v10
	v_and_b32_e32 v8, v8, v11
	v_and_b32_e32 v41, v41, v10
	v_lshlrev_b32_e32 v11, 29, v40
	v_mov_b32_e32 v10, v9
	v_cmp_gt_i64_e64 s[24:25], 0, v[10:11]
	v_not_b32_e32 v10, v11
	v_ashrrev_i32_e32 v10, 31, v10
	v_xor_b32_e32 v11, s25, v10
	v_xor_b32_e32 v10, s24, v10
	v_and_b32_e32 v8, v8, v11
	v_and_b32_e32 v41, v41, v10
	v_lshlrev_b32_e32 v11, 28, v40
	v_mov_b32_e32 v10, v9
	v_cmp_gt_i64_e64 s[24:25], 0, v[10:11]
	v_not_b32_e32 v10, v11
	v_ashrrev_i32_e32 v10, 31, v10
	;; [unrolled: 9-line block ×5, first 2 shown]
	v_xor_b32_e32 v11, s25, v10
	v_xor_b32_e32 v10, s24, v10
	v_and_b32_e32 v8, v8, v11
	v_lshlrev_b32_e32 v11, 24, v40
	v_and_b32_e32 v41, v41, v10
	v_mov_b32_e32 v10, v9
	v_not_b32_e32 v9, v11
	v_cmp_gt_i64_e64 s[24:25], 0, v[10:11]
	v_ashrrev_i32_e32 v9, 31, v9
	ds_read_b32 v37, v38 offset:64
	v_xor_b32_e32 v10, s25, v9
	v_xor_b32_e32 v11, s24, v9
	v_and_b32_e32 v9, v8, v10
	v_and_b32_e32 v8, v41, v11
	v_mbcnt_lo_u32_b32 v10, v8, 0
	v_mbcnt_hi_u32_b32 v40, v9, v10
	v_cmp_eq_u32_e64 s[24:25], 0, v40
	v_cmp_ne_u64_e64 s[26:27], 0, v[8:9]
	s_and_b64 s[26:27], s[26:27], s[24:25]
	; wave barrier
	s_and_saveexec_b64 s[24:25], s[26:27]
	s_cbranch_execz .LBB24_37
; %bb.36:
	v_bcnt_u32_b32 v8, v8, 0
	v_bcnt_u32_b32 v8, v9, v8
	s_waitcnt lgkmcnt(0)
	v_add_u32_e32 v8, v37, v8
	ds_write_b32 v38, v8 offset:64
.LBB24_37:
	s_or_b64 exec, exec, s[24:25]
	v_xor_b32_e32 v39, 0x80000000, v39
	v_lshrrev_b32_e32 v8, s68, v39
	v_and_b32_e32 v43, s33, v8
	v_lshl_add_u32 v8, v43, 4, v43
	v_add_lshl_u32 v42, v26, v8, 2
	v_and_b32_e32 v8, 1, v43
	v_mov_b32_e32 v9, 0
	v_lshl_add_u64 v[10:11], v[8:9], 0, -1
	v_cmp_ne_u32_e64 s[24:25], 0, v8
	; wave barrier
	s_nop 1
	v_xor_b32_e32 v10, s24, v10
	v_xor_b32_e32 v8, s25, v11
	v_and_b32_e32 v44, exec_lo, v10
	v_lshlrev_b32_e32 v11, 30, v43
	v_mov_b32_e32 v10, v9
	v_cmp_gt_i64_e64 s[24:25], 0, v[10:11]
	v_not_b32_e32 v10, v11
	v_ashrrev_i32_e32 v10, 31, v10
	v_and_b32_e32 v8, exec_hi, v8
	v_xor_b32_e32 v11, s25, v10
	v_xor_b32_e32 v10, s24, v10
	v_and_b32_e32 v8, v8, v11
	v_and_b32_e32 v44, v44, v10
	v_lshlrev_b32_e32 v11, 29, v43
	v_mov_b32_e32 v10, v9
	v_cmp_gt_i64_e64 s[24:25], 0, v[10:11]
	v_not_b32_e32 v10, v11
	v_ashrrev_i32_e32 v10, 31, v10
	v_xor_b32_e32 v11, s25, v10
	v_xor_b32_e32 v10, s24, v10
	v_and_b32_e32 v8, v8, v11
	v_and_b32_e32 v44, v44, v10
	v_lshlrev_b32_e32 v11, 28, v43
	v_mov_b32_e32 v10, v9
	v_cmp_gt_i64_e64 s[24:25], 0, v[10:11]
	v_not_b32_e32 v10, v11
	v_ashrrev_i32_e32 v10, 31, v10
	;; [unrolled: 9-line block ×6, first 2 shown]
	v_xor_b32_e32 v11, s25, v10
	v_xor_b32_e32 v10, s24, v10
	ds_read_b32 v41, v42 offset:64
	v_and_b32_e32 v10, v44, v10
	v_and_b32_e32 v11, v8, v11
	v_mbcnt_lo_u32_b32 v8, v10, 0
	v_mbcnt_hi_u32_b32 v44, v11, v8
	v_cmp_eq_u32_e64 s[24:25], 0, v44
	v_cmp_ne_u64_e64 s[26:27], 0, v[10:11]
	s_and_b64 s[26:27], s[26:27], s[24:25]
	; wave barrier
	s_and_saveexec_b64 s[24:25], s[26:27]
	s_cbranch_execz .LBB24_39
; %bb.38:
	v_bcnt_u32_b32 v8, v10, 0
	v_bcnt_u32_b32 v8, v11, v8
	s_waitcnt lgkmcnt(0)
	v_add_u32_e32 v8, v41, v8
	ds_write_b32 v42, v8 offset:64
.LBB24_39:
	s_or_b64 exec, exec, s[24:25]
	v_xor_b32_e32 v43, 0x80000000, v36
	v_lshrrev_b32_e32 v8, s68, v43
	v_and_b32_e32 v46, s33, v8
	v_lshl_add_u32 v8, v46, 4, v46
	v_add_lshl_u32 v45, v26, v8, 2
	v_and_b32_e32 v8, 1, v46
	v_lshl_add_u64 v[10:11], v[8:9], 0, -1
	v_cmp_ne_u32_e64 s[24:25], 0, v8
	; wave barrier
	s_nop 1
	v_xor_b32_e32 v10, s24, v10
	v_xor_b32_e32 v8, s25, v11
	v_and_b32_e32 v47, exec_lo, v10
	v_lshlrev_b32_e32 v11, 30, v46
	v_mov_b32_e32 v10, v9
	v_cmp_gt_i64_e64 s[24:25], 0, v[10:11]
	v_not_b32_e32 v10, v11
	v_ashrrev_i32_e32 v10, 31, v10
	v_and_b32_e32 v8, exec_hi, v8
	v_xor_b32_e32 v11, s25, v10
	v_xor_b32_e32 v10, s24, v10
	v_and_b32_e32 v8, v8, v11
	v_and_b32_e32 v47, v47, v10
	v_lshlrev_b32_e32 v11, 29, v46
	v_mov_b32_e32 v10, v9
	v_cmp_gt_i64_e64 s[24:25], 0, v[10:11]
	v_not_b32_e32 v10, v11
	v_ashrrev_i32_e32 v10, 31, v10
	v_xor_b32_e32 v11, s25, v10
	v_xor_b32_e32 v10, s24, v10
	v_and_b32_e32 v8, v8, v11
	v_and_b32_e32 v47, v47, v10
	v_lshlrev_b32_e32 v11, 28, v46
	v_mov_b32_e32 v10, v9
	v_cmp_gt_i64_e64 s[24:25], 0, v[10:11]
	v_not_b32_e32 v10, v11
	v_ashrrev_i32_e32 v10, 31, v10
	;; [unrolled: 9-line block ×5, first 2 shown]
	v_xor_b32_e32 v11, s25, v10
	v_xor_b32_e32 v10, s24, v10
	v_and_b32_e32 v8, v8, v11
	v_lshlrev_b32_e32 v11, 24, v46
	v_and_b32_e32 v47, v47, v10
	v_mov_b32_e32 v10, v9
	v_not_b32_e32 v9, v11
	v_cmp_gt_i64_e64 s[24:25], 0, v[10:11]
	v_ashrrev_i32_e32 v9, 31, v9
	ds_read_b32 v36, v45 offset:64
	v_xor_b32_e32 v10, s25, v9
	v_xor_b32_e32 v11, s24, v9
	v_and_b32_e32 v9, v8, v10
	v_and_b32_e32 v8, v47, v11
	v_mbcnt_lo_u32_b32 v10, v8, 0
	v_mbcnt_hi_u32_b32 v47, v9, v10
	v_cmp_eq_u32_e64 s[24:25], 0, v47
	v_cmp_ne_u64_e64 s[26:27], 0, v[8:9]
	s_and_b64 s[26:27], s[26:27], s[24:25]
	; wave barrier
	s_and_saveexec_b64 s[24:25], s[26:27]
	s_cbranch_execz .LBB24_41
; %bb.40:
	v_bcnt_u32_b32 v8, v8, 0
	v_bcnt_u32_b32 v8, v9, v8
	s_waitcnt lgkmcnt(0)
	v_add_u32_e32 v8, v36, v8
	ds_write_b32 v45, v8 offset:64
.LBB24_41:
	s_or_b64 exec, exec, s[24:25]
	v_xor_b32_e32 v46, 0x80000000, v32
	v_lshrrev_b32_e32 v8, s68, v46
	v_and_b32_e32 v49, s33, v8
	v_lshl_add_u32 v8, v49, 4, v49
	v_add_lshl_u32 v32, v26, v8, 2
	v_and_b32_e32 v8, 1, v49
	v_mov_b32_e32 v9, 0
	v_lshl_add_u64 v[10:11], v[8:9], 0, -1
	v_cmp_ne_u32_e64 s[24:25], 0, v8
	; wave barrier
	s_nop 1
	v_xor_b32_e32 v10, s24, v10
	v_xor_b32_e32 v8, s25, v11
	v_and_b32_e32 v50, exec_lo, v10
	v_lshlrev_b32_e32 v11, 30, v49
	v_mov_b32_e32 v10, v9
	v_cmp_gt_i64_e64 s[24:25], 0, v[10:11]
	v_not_b32_e32 v10, v11
	v_ashrrev_i32_e32 v10, 31, v10
	v_and_b32_e32 v8, exec_hi, v8
	v_xor_b32_e32 v11, s25, v10
	v_xor_b32_e32 v10, s24, v10
	v_and_b32_e32 v8, v8, v11
	v_and_b32_e32 v50, v50, v10
	v_lshlrev_b32_e32 v11, 29, v49
	v_mov_b32_e32 v10, v9
	v_cmp_gt_i64_e64 s[24:25], 0, v[10:11]
	v_not_b32_e32 v10, v11
	v_ashrrev_i32_e32 v10, 31, v10
	v_xor_b32_e32 v11, s25, v10
	v_xor_b32_e32 v10, s24, v10
	v_and_b32_e32 v8, v8, v11
	v_and_b32_e32 v50, v50, v10
	v_lshlrev_b32_e32 v11, 28, v49
	v_mov_b32_e32 v10, v9
	v_cmp_gt_i64_e64 s[24:25], 0, v[10:11]
	v_not_b32_e32 v10, v11
	v_ashrrev_i32_e32 v10, 31, v10
	;; [unrolled: 9-line block ×6, first 2 shown]
	v_xor_b32_e32 v11, s25, v10
	v_xor_b32_e32 v10, s24, v10
	ds_read_b32 v48, v32 offset:64
	v_and_b32_e32 v10, v50, v10
	v_and_b32_e32 v11, v8, v11
	v_mbcnt_lo_u32_b32 v8, v10, 0
	v_mbcnt_hi_u32_b32 v50, v11, v8
	v_cmp_eq_u32_e64 s[24:25], 0, v50
	v_cmp_ne_u64_e64 s[26:27], 0, v[10:11]
	s_and_b64 s[26:27], s[26:27], s[24:25]
	; wave barrier
	s_and_saveexec_b64 s[24:25], s[26:27]
	s_cbranch_execz .LBB24_43
; %bb.42:
	v_bcnt_u32_b32 v8, v10, 0
	v_bcnt_u32_b32 v8, v11, v8
	s_waitcnt lgkmcnt(0)
	v_add_u32_e32 v8, v48, v8
	ds_write_b32 v32, v8 offset:64
.LBB24_43:
	s_or_b64 exec, exec, s[24:25]
	v_xor_b32_e32 v49, 0x80000000, v27
	v_lshrrev_b32_e32 v8, s68, v49
	v_and_b32_e32 v52, s33, v8
	v_lshl_add_u32 v8, v52, 4, v52
	v_add_lshl_u32 v27, v26, v8, 2
	v_and_b32_e32 v8, 1, v52
	v_lshl_add_u64 v[10:11], v[8:9], 0, -1
	v_cmp_ne_u32_e64 s[24:25], 0, v8
	; wave barrier
	s_nop 1
	v_xor_b32_e32 v10, s24, v10
	v_xor_b32_e32 v8, s25, v11
	v_and_b32_e32 v53, exec_lo, v10
	v_lshlrev_b32_e32 v11, 30, v52
	v_mov_b32_e32 v10, v9
	v_cmp_gt_i64_e64 s[24:25], 0, v[10:11]
	v_not_b32_e32 v10, v11
	v_ashrrev_i32_e32 v10, 31, v10
	v_and_b32_e32 v8, exec_hi, v8
	v_xor_b32_e32 v11, s25, v10
	v_xor_b32_e32 v10, s24, v10
	v_and_b32_e32 v8, v8, v11
	v_and_b32_e32 v53, v53, v10
	v_lshlrev_b32_e32 v11, 29, v52
	v_mov_b32_e32 v10, v9
	v_cmp_gt_i64_e64 s[24:25], 0, v[10:11]
	v_not_b32_e32 v10, v11
	v_ashrrev_i32_e32 v10, 31, v10
	v_xor_b32_e32 v11, s25, v10
	v_xor_b32_e32 v10, s24, v10
	v_and_b32_e32 v8, v8, v11
	v_and_b32_e32 v53, v53, v10
	v_lshlrev_b32_e32 v11, 28, v52
	v_mov_b32_e32 v10, v9
	v_cmp_gt_i64_e64 s[24:25], 0, v[10:11]
	v_not_b32_e32 v10, v11
	v_ashrrev_i32_e32 v10, 31, v10
	;; [unrolled: 9-line block ×5, first 2 shown]
	v_xor_b32_e32 v11, s25, v10
	v_xor_b32_e32 v10, s24, v10
	v_and_b32_e32 v8, v8, v11
	v_lshlrev_b32_e32 v11, 24, v52
	v_and_b32_e32 v53, v53, v10
	v_mov_b32_e32 v10, v9
	v_not_b32_e32 v9, v11
	v_cmp_gt_i64_e64 s[24:25], 0, v[10:11]
	v_ashrrev_i32_e32 v9, 31, v9
	ds_read_b32 v51, v27 offset:64
	v_xor_b32_e32 v10, s25, v9
	v_xor_b32_e32 v11, s24, v9
	v_and_b32_e32 v9, v8, v10
	v_and_b32_e32 v8, v53, v11
	v_mbcnt_lo_u32_b32 v10, v8, 0
	v_mbcnt_hi_u32_b32 v53, v9, v10
	v_cmp_eq_u32_e64 s[24:25], 0, v53
	v_cmp_ne_u64_e64 s[26:27], 0, v[8:9]
	s_and_b64 s[26:27], s[26:27], s[24:25]
	; wave barrier
	s_and_saveexec_b64 s[24:25], s[26:27]
	s_cbranch_execz .LBB24_45
; %bb.44:
	v_bcnt_u32_b32 v8, v8, 0
	v_bcnt_u32_b32 v8, v9, v8
	s_waitcnt lgkmcnt(0)
	v_add_u32_e32 v8, v51, v8
	ds_write_b32 v27, v8 offset:64
.LBB24_45:
	s_or_b64 exec, exec, s[24:25]
	v_xor_b32_e32 v52, 0x80000000, v21
	v_lshrrev_b32_e32 v8, s68, v52
	v_and_b32_e32 v55, s33, v8
	v_lshl_add_u32 v8, v55, 4, v55
	v_add_lshl_u32 v21, v26, v8, 2
	v_and_b32_e32 v8, 1, v55
	v_mov_b32_e32 v9, 0
	v_lshl_add_u64 v[10:11], v[8:9], 0, -1
	v_cmp_ne_u32_e64 s[24:25], 0, v8
	; wave barrier
	s_nop 1
	v_xor_b32_e32 v10, s24, v10
	v_xor_b32_e32 v8, s25, v11
	v_and_b32_e32 v56, exec_lo, v10
	v_lshlrev_b32_e32 v11, 30, v55
	v_mov_b32_e32 v10, v9
	v_cmp_gt_i64_e64 s[24:25], 0, v[10:11]
	v_not_b32_e32 v10, v11
	v_ashrrev_i32_e32 v10, 31, v10
	v_and_b32_e32 v8, exec_hi, v8
	v_xor_b32_e32 v11, s25, v10
	v_xor_b32_e32 v10, s24, v10
	v_and_b32_e32 v8, v8, v11
	v_and_b32_e32 v56, v56, v10
	v_lshlrev_b32_e32 v11, 29, v55
	v_mov_b32_e32 v10, v9
	v_cmp_gt_i64_e64 s[24:25], 0, v[10:11]
	v_not_b32_e32 v10, v11
	v_ashrrev_i32_e32 v10, 31, v10
	v_xor_b32_e32 v11, s25, v10
	v_xor_b32_e32 v10, s24, v10
	v_and_b32_e32 v8, v8, v11
	v_and_b32_e32 v56, v56, v10
	v_lshlrev_b32_e32 v11, 28, v55
	v_mov_b32_e32 v10, v9
	v_cmp_gt_i64_e64 s[24:25], 0, v[10:11]
	v_not_b32_e32 v10, v11
	v_ashrrev_i32_e32 v10, 31, v10
	;; [unrolled: 9-line block ×6, first 2 shown]
	v_xor_b32_e32 v11, s25, v10
	v_xor_b32_e32 v10, s24, v10
	ds_read_b32 v54, v21 offset:64
	v_and_b32_e32 v10, v56, v10
	v_and_b32_e32 v11, v8, v11
	v_mbcnt_lo_u32_b32 v8, v10, 0
	v_mbcnt_hi_u32_b32 v56, v11, v8
	v_cmp_eq_u32_e64 s[24:25], 0, v56
	v_cmp_ne_u64_e64 s[26:27], 0, v[10:11]
	s_and_b64 s[26:27], s[26:27], s[24:25]
	; wave barrier
	s_and_saveexec_b64 s[24:25], s[26:27]
	s_cbranch_execz .LBB24_47
; %bb.46:
	v_bcnt_u32_b32 v8, v10, 0
	v_bcnt_u32_b32 v8, v11, v8
	s_waitcnt lgkmcnt(0)
	v_add_u32_e32 v8, v54, v8
	ds_write_b32 v21, v8 offset:64
.LBB24_47:
	s_or_b64 exec, exec, s[24:25]
	v_xor_b32_e32 v55, 0x80000000, v12
	v_lshrrev_b32_e32 v8, s68, v55
	v_and_b32_e32 v12, s33, v8
	v_lshl_add_u32 v8, v12, 4, v12
	v_add_lshl_u32 v57, v26, v8, 2
	v_and_b32_e32 v8, 1, v12
	v_lshl_add_u64 v[10:11], v[8:9], 0, -1
	v_cmp_ne_u32_e64 s[24:25], 0, v8
	; wave barrier
	s_nop 1
	v_xor_b32_e32 v10, s24, v10
	v_xor_b32_e32 v8, s25, v11
	v_and_b32_e32 v59, exec_lo, v10
	v_lshlrev_b32_e32 v11, 30, v12
	v_mov_b32_e32 v10, v9
	v_cmp_gt_i64_e64 s[24:25], 0, v[10:11]
	v_not_b32_e32 v10, v11
	v_ashrrev_i32_e32 v10, 31, v10
	v_and_b32_e32 v8, exec_hi, v8
	v_xor_b32_e32 v11, s25, v10
	v_xor_b32_e32 v10, s24, v10
	v_and_b32_e32 v8, v8, v11
	v_and_b32_e32 v59, v59, v10
	v_lshlrev_b32_e32 v11, 29, v12
	v_mov_b32_e32 v10, v9
	v_cmp_gt_i64_e64 s[24:25], 0, v[10:11]
	v_not_b32_e32 v10, v11
	v_ashrrev_i32_e32 v10, 31, v10
	v_xor_b32_e32 v11, s25, v10
	v_xor_b32_e32 v10, s24, v10
	v_and_b32_e32 v8, v8, v11
	v_and_b32_e32 v59, v59, v10
	v_lshlrev_b32_e32 v11, 28, v12
	v_mov_b32_e32 v10, v9
	v_cmp_gt_i64_e64 s[24:25], 0, v[10:11]
	v_not_b32_e32 v10, v11
	v_ashrrev_i32_e32 v10, 31, v10
	;; [unrolled: 9-line block ×5, first 2 shown]
	v_xor_b32_e32 v11, s25, v10
	v_xor_b32_e32 v10, s24, v10
	v_and_b32_e32 v8, v8, v11
	v_lshlrev_b32_e32 v11, 24, v12
	v_and_b32_e32 v59, v59, v10
	v_mov_b32_e32 v10, v9
	v_not_b32_e32 v9, v11
	v_cmp_gt_i64_e64 s[24:25], 0, v[10:11]
	v_ashrrev_i32_e32 v9, 31, v9
	ds_read_b32 v26, v57 offset:64
	v_xor_b32_e32 v10, s25, v9
	v_xor_b32_e32 v11, s24, v9
	v_and_b32_e32 v9, v8, v10
	v_and_b32_e32 v8, v59, v11
	v_mbcnt_lo_u32_b32 v10, v8, 0
	v_mbcnt_hi_u32_b32 v59, v9, v10
	v_cmp_eq_u32_e64 s[24:25], 0, v59
	v_cmp_ne_u64_e64 s[26:27], 0, v[8:9]
	v_add_u32_e32 v58, 64, v7
	s_and_b64 s[26:27], s[26:27], s[24:25]
	; wave barrier
	s_and_saveexec_b64 s[24:25], s[26:27]
	s_cbranch_execz .LBB24_49
; %bb.48:
	v_bcnt_u32_b32 v8, v8, 0
	v_bcnt_u32_b32 v8, v9, v8
	s_waitcnt lgkmcnt(0)
	v_add_u32_e32 v8, v26, v8
	ds_write_b32 v57, v8 offset:64
.LBB24_49:
	s_or_b64 exec, exec, s[24:25]
	; wave barrier
	s_waitcnt lgkmcnt(0)
	s_barrier
	ds_read2_b32 v[10:11], v7 offset0:16 offset1:17
	ds_read2_b32 v[8:9], v58 offset0:2 offset1:3
	ds_read_b32 v12, v58 offset:16
	v_cmp_lt_u32_e64 s[34:35], 31, v4
	s_waitcnt lgkmcnt(1)
	v_add3_u32 v60, v11, v10, v8
	s_waitcnt lgkmcnt(0)
	v_add3_u32 v12, v60, v9, v12
	v_and_b32_e32 v60, 15, v4
	v_cmp_eq_u32_e64 s[24:25], 0, v60
	v_mov_b32_dpp v61, v12 row_shr:1 row_mask:0xf bank_mask:0xf
	v_cmp_lt_u32_e64 s[26:27], 1, v60
	v_cndmask_b32_e64 v61, v61, 0, s[24:25]
	v_add_u32_e32 v12, v61, v12
	v_cmp_lt_u32_e64 s[28:29], 3, v60
	v_cmp_lt_u32_e64 s[30:31], 7, v60
	v_mov_b32_dpp v61, v12 row_shr:2 row_mask:0xf bank_mask:0xf
	v_cndmask_b32_e64 v61, 0, v61, s[26:27]
	v_add_u32_e32 v12, v12, v61
	s_nop 1
	v_mov_b32_dpp v61, v12 row_shr:4 row_mask:0xf bank_mask:0xf
	v_cndmask_b32_e64 v61, 0, v61, s[28:29]
	v_add_u32_e32 v12, v12, v61
	s_nop 1
	v_mov_b32_dpp v61, v12 row_shr:8 row_mask:0xf bank_mask:0xf
	v_cndmask_b32_e64 v60, 0, v61, s[30:31]
	v_add_u32_e32 v12, v12, v60
	v_bfe_i32 v61, v4, 4, 1
	s_nop 0
	v_mov_b32_dpp v60, v12 row_bcast:15 row_mask:0xf bank_mask:0xf
	v_and_b32_e32 v60, v61, v60
	v_add_u32_e32 v12, v12, v60
	v_lshrrev_b32_e32 v61, 6, v2
	s_nop 0
	v_mov_b32_dpp v60, v12 row_bcast:31 row_mask:0xf bank_mask:0xf
	v_cndmask_b32_e64 v60, 0, v60, s[34:35]
	v_add_u32_e32 v60, v12, v60
	v_and_b32_e32 v12, 63, v2
	v_cmp_eq_u32_e64 s[34:35], 63, v12
	s_and_saveexec_b64 s[36:37], s[34:35]
	s_cbranch_execz .LBB24_51
; %bb.50:
	v_lshlrev_b32_e32 v12, 2, v61
	ds_write_b32 v12, v60
.LBB24_51:
	s_or_b64 exec, exec, s[36:37]
	v_cmp_gt_u32_e64 s[34:35], 16, v2
	v_lshlrev_b32_e32 v12, 2, v2
	s_waitcnt lgkmcnt(0)
	s_barrier
	s_and_saveexec_b64 s[36:37], s[34:35]
	s_cbranch_execz .LBB24_53
; %bb.52:
	ds_read_b32 v62, v12
	s_waitcnt lgkmcnt(0)
	s_nop 0
	v_mov_b32_dpp v63, v62 row_shr:1 row_mask:0xf bank_mask:0xf
	v_cndmask_b32_e64 v63, v63, 0, s[24:25]
	v_add_u32_e32 v62, v63, v62
	s_nop 1
	v_mov_b32_dpp v63, v62 row_shr:2 row_mask:0xf bank_mask:0xf
	v_cndmask_b32_e64 v63, 0, v63, s[26:27]
	v_add_u32_e32 v62, v62, v63
	;; [unrolled: 4-line block ×4, first 2 shown]
	ds_write_b32 v12, v62
.LBB24_53:
	s_or_b64 exec, exec, s[36:37]
	v_cmp_lt_u32_e64 s[24:25], 63, v2
	v_mov_b32_e32 v62, 0
	s_waitcnt lgkmcnt(0)
	s_barrier
	s_and_saveexec_b64 s[26:27], s[24:25]
	s_cbranch_execz .LBB24_55
; %bb.54:
	v_lshl_add_u32 v61, v61, 2, -4
	ds_read_b32 v62, v61
.LBB24_55:
	s_or_b64 exec, exec, s[26:27]
	v_add_u32_e32 v61, -1, v4
	v_and_b32_e32 v63, 64, v4
	v_cmp_lt_i32_e64 s[24:25], v61, v63
	s_waitcnt lgkmcnt(0)
	v_add_u32_e32 v60, v62, v60
	v_cndmask_b32_e64 v61, v61, v4, s[24:25]
	v_lshlrev_b32_e32 v61, 2, v61
	ds_bpermute_b32 v60, v61, v60
	v_cmp_eq_u32_e64 s[24:25], 0, v4
	s_waitcnt lgkmcnt(0)
	s_nop 0
	v_cndmask_b32_e64 v60, v60, v62, s[24:25]
	v_cmp_ne_u32_e64 s[24:25], 0, v2
	s_nop 1
	v_cndmask_b32_e64 v60, 0, v60, s[24:25]
	v_add_u32_e32 v10, v60, v10
	v_add_u32_e32 v11, v10, v11
	;; [unrolled: 1-line block ×4, first 2 shown]
	ds_write2_b32 v7, v60, v10 offset0:16 offset1:17
	ds_write2_b32 v58, v11, v8 offset0:2 offset1:3
	ds_write_b32 v58, v9 offset:16
	s_waitcnt lgkmcnt(0)
	s_barrier
	ds_read_b32 v9, v16 offset:64
	ds_read_b32 v11, v17 offset:64
	;; [unrolled: 1-line block ×12, first 2 shown]
	s_movk_i32 s24, 0x100
	v_cmp_gt_u32_e64 s[24:25], s24, v2
                                        ; implicit-def: $vgpr8
                                        ; implicit-def: $vgpr10
	s_and_saveexec_b64 s[28:29], s[24:25]
	s_cbranch_execz .LBB24_59
; %bb.56:
	v_mul_u32_u24_e32 v7, 17, v2
	v_lshlrev_b32_e32 v10, 2, v7
	ds_read_b32 v8, v10 offset:64
	s_movk_i32 s26, 0xff
	v_cmp_ne_u32_e64 s[26:27], s26, v2
	v_mov_b32_e32 v7, 0x3000
	s_and_saveexec_b64 s[30:31], s[26:27]
	s_cbranch_execz .LBB24_58
; %bb.57:
	ds_read_b32 v7, v10 offset:132
.LBB24_58:
	s_or_b64 exec, exec, s[30:31]
	s_waitcnt lgkmcnt(0)
	v_sub_u32_e32 v10, v7, v8
.LBB24_59:
	s_or_b64 exec, exec, s[28:29]
	s_waitcnt lgkmcnt(11)
	v_add_u32_e32 v9, v9, v14
	s_waitcnt lgkmcnt(10)
	v_add3_u32 v11, v19, v15, v11
	v_lshlrev_b32_e32 v14, 2, v9
	s_waitcnt lgkmcnt(9)
	v_add3_u32 v21, v24, v20, v16
	s_waitcnt lgkmcnt(0)
	s_barrier
	ds_write_b32 v14, v3 offset:2048
	v_lshlrev_b32_e32 v3, 2, v11
	v_add3_u32 v25, v30, v25, v17
	ds_write_b32 v3, v13 offset:2048
	v_lshlrev_b32_e32 v3, 2, v21
	v_add3_u32 v27, v35, v31, v22
	;; [unrolled: 3-line block ×9, first 2 shown]
	ds_write_b32 v3, v49 offset:2048
	v_lshlrev_b32_e32 v3, 2, v36
	v_mov_b32_e32 v7, v5
	ds_write_b32 v3, v52 offset:2048
	v_lshlrev_b32_e32 v3, 2, v37
	ds_write_b32 v3, v55 offset:2048
	s_waitcnt lgkmcnt(0)
	s_barrier
	s_and_saveexec_b64 s[28:29], s[24:25]
	s_cbranch_execz .LBB24_69
; %bb.60:
	v_lshl_or_b32 v16, s2, 8, v2
	v_mov_b32_e32 v17, 0
	v_lshl_add_u64 v[14:15], v[16:17], 2, s[72:73]
	v_or_b32_e32 v3, 2.0, v10
	global_store_dword v[14:15], v3, off sc1
	s_mov_b64 s[30:31], 0
	s_brev_b32 s38, 1
	s_mov_b32 s39, s2
	v_mov_b32_e32 v3, 0
                                        ; implicit-def: $sgpr26_sgpr27
	s_branch .LBB24_62
.LBB24_61:                              ;   in Loop: Header=BB24_62 Depth=1
	s_or_b64 exec, exec, s[34:35]
	v_and_b32_e32 v16, 0x3fffffff, v16
	v_add_u32_e32 v3, v16, v3
	v_cmp_eq_u32_e64 s[26:27], s38, v13
	s_and_b64 s[34:35], exec, s[26:27]
	s_or_b64 s[30:31], s[34:35], s[30:31]
	s_andn2_b64 exec, exec, s[30:31]
	s_cbranch_execz .LBB24_68
.LBB24_62:                              ; =>This Loop Header: Depth=1
                                        ;     Child Loop BB24_65 Depth 2
	s_or_b64 s[26:27], s[26:27], exec
	s_cmp_eq_u32 s39, 0
	s_cbranch_scc1 .LBB24_67
; %bb.63:                               ;   in Loop: Header=BB24_62 Depth=1
	s_add_i32 s39, s39, -1
	v_lshl_or_b32 v16, s39, 8, v2
	v_lshl_add_u64 v[18:19], v[16:17], 2, s[72:73]
	global_load_dword v16, v[18:19], off sc1
	s_waitcnt vmcnt(0)
	v_and_b32_e32 v13, -2.0, v16
	v_cmp_eq_u32_e64 s[26:27], 0, v13
	s_and_saveexec_b64 s[34:35], s[26:27]
	s_cbranch_execz .LBB24_61
; %bb.64:                               ;   in Loop: Header=BB24_62 Depth=1
	s_mov_b64 s[36:37], 0
.LBB24_65:                              ;   Parent Loop BB24_62 Depth=1
                                        ; =>  This Inner Loop Header: Depth=2
	global_load_dword v16, v[18:19], off sc1
	s_waitcnt vmcnt(0)
	v_and_b32_e32 v13, -2.0, v16
	v_cmp_ne_u32_e64 s[26:27], 0, v13
	s_or_b64 s[36:37], s[26:27], s[36:37]
	s_andn2_b64 exec, exec, s[36:37]
	s_cbranch_execnz .LBB24_65
; %bb.66:                               ;   in Loop: Header=BB24_62 Depth=1
	s_or_b64 exec, exec, s[36:37]
	s_branch .LBB24_61
.LBB24_67:                              ;   in Loop: Header=BB24_62 Depth=1
                                        ; implicit-def: $sgpr39
	s_and_b64 s[34:35], exec, s[26:27]
	s_or_b64 s[30:31], s[34:35], s[30:31]
	s_andn2_b64 exec, exec, s[30:31]
	s_cbranch_execnz .LBB24_62
.LBB24_68:
	s_or_b64 exec, exec, s[30:31]
	v_add_u32_e32 v13, v3, v10
	v_or_b32_e32 v13, 0x80000000, v13
	global_store_dword v[14:15], v13, off sc1
	v_lshlrev_b32_e32 v13, 3, v2
	global_load_dwordx2 v[14:15], v13, s[64:65]
	v_sub_co_u32_e64 v16, s[26:27], v3, v8
	s_nop 1
	v_subb_co_u32_e64 v17, s[26:27], 0, 0, s[26:27]
	s_waitcnt vmcnt(0)
	v_lshl_add_u64 v[14:15], v[16:17], 0, v[14:15]
	ds_write_b64 v13, v[14:15]
.LBB24_69:
	s_or_b64 exec, exec, s[28:29]
	v_cmp_gt_u32_e64 s[26:27], s55, v2
	s_waitcnt lgkmcnt(0)
	s_barrier
	s_and_saveexec_b64 s[28:29], s[26:27]
	s_cbranch_execz .LBB24_71
; %bb.70:
	ds_read_b32 v3, v12 offset:2048
	s_waitcnt lgkmcnt(0)
	v_lshrrev_b32_e32 v13, s68, v3
	v_and_b32_e32 v13, s33, v13
	v_lshlrev_b32_e32 v13, 3, v13
	ds_read_b64 v[14:15], v13
	v_mov_b32_e32 v13, 0
	v_xor_b32_e32 v3, 0x80000000, v3
	s_waitcnt lgkmcnt(0)
	v_lshl_add_u64 v[14:15], v[14:15], 2, s[58:59]
	v_lshl_add_u64 v[14:15], v[14:15], 0, v[12:13]
	global_store_dword v[14:15], v3, off
.LBB24_71:
	s_or_b64 exec, exec, s[28:29]
	v_or_b32_e32 v3, 0x400, v2
	v_cmp_gt_u32_e64 s[28:29], s55, v3
	s_and_saveexec_b64 s[30:31], s[28:29]
	s_cbranch_execz .LBB24_73
; %bb.72:
	ds_read_b32 v13, v12 offset:6144
	v_lshlrev_b32_e32 v16, 2, v3
	v_mov_b32_e32 v17, 0
	s_waitcnt lgkmcnt(0)
	v_lshrrev_b32_e32 v14, s68, v13
	v_and_b32_e32 v14, s33, v14
	v_lshlrev_b32_e32 v14, 3, v14
	ds_read_b64 v[14:15], v14
	v_xor_b32_e32 v3, 0x80000000, v13
	s_waitcnt lgkmcnt(0)
	v_lshl_add_u64 v[14:15], v[14:15], 2, s[58:59]
	v_lshl_add_u64 v[14:15], v[14:15], 0, v[16:17]
	global_store_dword v[14:15], v3, off
.LBB24_73:
	s_or_b64 exec, exec, s[30:31]
	v_or_b32_e32 v3, 0x800, v2
	v_cmp_gt_u32_e64 s[30:31], s55, v3
	s_and_saveexec_b64 s[34:35], s[30:31]
	s_cbranch_execz .LBB24_75
; %bb.74:
	ds_read_b32 v13, v12 offset:10240
	v_lshlrev_b32_e32 v16, 2, v3
	v_mov_b32_e32 v17, 0
	s_waitcnt lgkmcnt(0)
	v_lshrrev_b32_e32 v14, s68, v13
	v_and_b32_e32 v14, s33, v14
	v_lshlrev_b32_e32 v14, 3, v14
	ds_read_b64 v[14:15], v14
	v_xor_b32_e32 v3, 0x80000000, v13
	s_waitcnt lgkmcnt(0)
	v_lshl_add_u64 v[14:15], v[14:15], 2, s[58:59]
	v_lshl_add_u64 v[14:15], v[14:15], 0, v[16:17]
	global_store_dword v[14:15], v3, off
.LBB24_75:
	;; [unrolled: 20-line block ×11, first 2 shown]
	s_or_b64 exec, exec, s[70:71]
	s_add_u32 s70, s60, s54
	s_addc_u32 s71, s61, 0
	v_lshl_add_u64 v[4:5], s[70:71], 0, v[4:5]
	v_lshl_add_u64 v[4:5], v[4:5], 0, v[6:7]
                                        ; implicit-def: $vgpr3
	s_and_saveexec_b64 s[70:71], vcc
	s_xor_b64 s[70:71], exec, s[70:71]
	s_cbranch_execnz .LBB24_188
; %bb.94:
	s_or_b64 exec, exec, s[70:71]
                                        ; implicit-def: $vgpr6
	s_and_saveexec_b64 s[70:71], s[52:53]
	s_cbranch_execnz .LBB24_189
.LBB24_95:
	s_or_b64 exec, exec, s[70:71]
                                        ; implicit-def: $vgpr7
	s_and_saveexec_b64 s[52:53], s[4:5]
	s_cbranch_execnz .LBB24_190
.LBB24_96:
	s_or_b64 exec, exec, s[52:53]
                                        ; implicit-def: $vgpr13
	s_and_saveexec_b64 s[4:5], s[6:7]
	s_cbranch_execnz .LBB24_191
.LBB24_97:
	s_or_b64 exec, exec, s[4:5]
                                        ; implicit-def: $vgpr15
	s_and_saveexec_b64 s[4:5], s[8:9]
	s_cbranch_execnz .LBB24_192
.LBB24_98:
	s_or_b64 exec, exec, s[4:5]
                                        ; implicit-def: $vgpr17
	s_and_saveexec_b64 s[4:5], s[10:11]
	s_cbranch_execnz .LBB24_193
.LBB24_99:
	s_or_b64 exec, exec, s[4:5]
                                        ; implicit-def: $vgpr19
	s_and_saveexec_b64 s[4:5], s[12:13]
	s_cbranch_execnz .LBB24_194
.LBB24_100:
	s_or_b64 exec, exec, s[4:5]
                                        ; implicit-def: $vgpr23
	s_and_saveexec_b64 s[4:5], s[14:15]
	s_cbranch_execnz .LBB24_195
.LBB24_101:
	s_or_b64 exec, exec, s[4:5]
                                        ; implicit-def: $vgpr38
	s_and_saveexec_b64 s[4:5], s[16:17]
	s_cbranch_execnz .LBB24_196
.LBB24_102:
	s_or_b64 exec, exec, s[4:5]
                                        ; implicit-def: $vgpr41
	s_and_saveexec_b64 s[4:5], s[18:19]
	s_cbranch_execnz .LBB24_197
.LBB24_103:
	s_or_b64 exec, exec, s[4:5]
                                        ; implicit-def: $vgpr44
	s_and_saveexec_b64 s[4:5], s[20:21]
	s_cbranch_execnz .LBB24_198
.LBB24_104:
	s_or_b64 exec, exec, s[4:5]
                                        ; implicit-def: $vgpr48
	s_and_saveexec_b64 s[4:5], s[22:23]
	s_cbranch_execnz .LBB24_199
.LBB24_105:
	s_or_b64 exec, exec, s[4:5]
                                        ; implicit-def: $vgpr49
	s_and_saveexec_b64 s[4:5], s[26:27]
	s_cbranch_execnz .LBB24_200
.LBB24_106:
	s_or_b64 exec, exec, s[4:5]
                                        ; implicit-def: $vgpr47
	s_and_saveexec_b64 s[4:5], s[28:29]
	s_cbranch_execnz .LBB24_201
.LBB24_107:
	s_or_b64 exec, exec, s[4:5]
                                        ; implicit-def: $vgpr46
	s_and_saveexec_b64 s[4:5], s[30:31]
	s_cbranch_execnz .LBB24_202
.LBB24_108:
	s_or_b64 exec, exec, s[4:5]
                                        ; implicit-def: $vgpr45
	s_and_saveexec_b64 s[4:5], s[34:35]
	s_cbranch_execnz .LBB24_203
.LBB24_109:
	s_or_b64 exec, exec, s[4:5]
                                        ; implicit-def: $vgpr43
	s_and_saveexec_b64 s[4:5], s[36:37]
	s_cbranch_execnz .LBB24_204
.LBB24_110:
	s_or_b64 exec, exec, s[4:5]
                                        ; implicit-def: $vgpr42
	s_and_saveexec_b64 s[4:5], s[38:39]
	s_cbranch_execnz .LBB24_205
.LBB24_111:
	s_or_b64 exec, exec, s[4:5]
                                        ; implicit-def: $vgpr40
	s_and_saveexec_b64 s[4:5], s[40:41]
	s_cbranch_execnz .LBB24_206
.LBB24_112:
	s_or_b64 exec, exec, s[4:5]
                                        ; implicit-def: $vgpr39
	s_and_saveexec_b64 s[4:5], s[42:43]
	s_cbranch_execnz .LBB24_207
.LBB24_113:
	s_or_b64 exec, exec, s[4:5]
                                        ; implicit-def: $vgpr34
	s_and_saveexec_b64 s[4:5], s[44:45]
	s_cbranch_execz .LBB24_115
.LBB24_114:
	ds_read_b32 v4, v12 offset:34816
	s_waitcnt lgkmcnt(0)
	v_lshrrev_b32_e32 v4, s68, v4
	v_and_b32_e32 v34, s33, v4
.LBB24_115:
	s_or_b64 exec, exec, s[4:5]
	v_mov_b32_e32 v4, 0
	v_mov_b32_e32 v29, 0
	s_and_saveexec_b64 s[4:5], s[46:47]
	s_cbranch_execnz .LBB24_208
; %bb.116:
	s_or_b64 exec, exec, s[4:5]
	s_and_saveexec_b64 s[4:5], s[48:49]
	s_cbranch_execnz .LBB24_209
.LBB24_117:
	s_or_b64 exec, exec, s[4:5]
	v_mov_b32_e32 v5, 0
	s_and_saveexec_b64 s[4:5], s[50:51]
	s_cbranch_execz .LBB24_119
.LBB24_118:
	ds_read_b32 v5, v12 offset:47104
	s_waitcnt lgkmcnt(0)
	v_lshrrev_b32_e32 v5, s68, v5
	v_and_b32_e32 v5, s33, v5
.LBB24_119:
	s_or_b64 exec, exec, s[4:5]
	s_barrier
	s_waitcnt vmcnt(0)
	ds_write_b8 v9, v3 offset:2048
	ds_write_b8 v11, v6 offset:2048
	;; [unrolled: 1-line block ×12, first 2 shown]
	s_waitcnt lgkmcnt(0)
	s_barrier
	s_and_saveexec_b64 s[4:5], s[26:27]
	s_cbranch_execnz .LBB24_210
; %bb.120:
	s_or_b64 exec, exec, s[4:5]
	s_and_saveexec_b64 s[4:5], s[28:29]
	s_cbranch_execnz .LBB24_211
.LBB24_121:
	s_or_b64 exec, exec, s[4:5]
	s_and_saveexec_b64 s[4:5], s[30:31]
	s_cbranch_execnz .LBB24_212
.LBB24_122:
	s_or_b64 exec, exec, s[4:5]
	s_and_saveexec_b64 s[4:5], s[34:35]
	s_cbranch_execnz .LBB24_213
.LBB24_123:
	s_or_b64 exec, exec, s[4:5]
	s_and_saveexec_b64 s[4:5], s[36:37]
	s_cbranch_execnz .LBB24_214
.LBB24_124:
	s_or_b64 exec, exec, s[4:5]
	s_and_saveexec_b64 s[4:5], s[38:39]
	s_cbranch_execnz .LBB24_215
.LBB24_125:
	s_or_b64 exec, exec, s[4:5]
	s_and_saveexec_b64 s[4:5], s[40:41]
	s_cbranch_execnz .LBB24_216
.LBB24_126:
	s_or_b64 exec, exec, s[4:5]
	s_and_saveexec_b64 s[4:5], s[42:43]
	s_cbranch_execnz .LBB24_217
.LBB24_127:
	s_or_b64 exec, exec, s[4:5]
	s_and_saveexec_b64 s[4:5], s[44:45]
	s_cbranch_execnz .LBB24_218
.LBB24_128:
	s_or_b64 exec, exec, s[4:5]
	s_and_saveexec_b64 s[4:5], s[46:47]
	s_cbranch_execnz .LBB24_219
.LBB24_129:
	s_or_b64 exec, exec, s[4:5]
	s_and_saveexec_b64 s[4:5], s[48:49]
	s_cbranch_execnz .LBB24_220
.LBB24_130:
	s_or_b64 exec, exec, s[4:5]
	s_and_saveexec_b64 s[4:5], s[50:51]
	s_cbranch_execz .LBB24_132
.LBB24_131:
	v_lshlrev_b32_e32 v3, 3, v5
	ds_read_b64 v[4:5], v3
	ds_read_u8 v3, v2 offset:13312
	v_mov_b32_e32 v29, 0
	s_waitcnt lgkmcnt(1)
	v_lshl_add_u64 v[4:5], s[62:63], 0, v[4:5]
	v_lshl_add_u64 v[4:5], v[4:5], 0, v[28:29]
	s_waitcnt lgkmcnt(0)
	global_store_byte v[4:5], v3, off
.LBB24_132:
	s_or_b64 exec, exec, s[4:5]
	s_add_i32 s3, s3, -1
	s_cmp_eq_u32 s2, s3
	s_cselect_b64 s[4:5], -1, 0
	s_and_b64 s[6:7], s[24:25], s[4:5]
	s_mov_b64 s[4:5], 0
	s_mov_b64 s[10:11], 0
                                        ; implicit-def: $vgpr4_vgpr5
	s_and_saveexec_b64 s[8:9], s[6:7]
	s_xor_b64 s[6:7], exec, s[8:9]
; %bb.133:
	v_mov_b32_e32 v9, 0
	v_mov_b32_e32 v11, v9
	s_mov_b64 s[10:11], exec
	v_lshl_add_u64 v[4:5], v[8:9], 0, v[10:11]
	v_mov_b32_e32 v3, v9
; %bb.134:
	s_or_b64 exec, exec, s[6:7]
	s_and_b64 vcc, exec, s[4:5]
	s_cbranch_vccnz .LBB24_136
	s_branch .LBB24_185
.LBB24_135:
	s_mov_b64 s[10:11], 0
                                        ; implicit-def: $vgpr4_vgpr5
                                        ; implicit-def: $vgpr2_vgpr3
	s_cbranch_execz .LBB24_185
.LBB24_136:
	s_mov_b32 s55, 0
	s_lshl_b64 s[4:5], s[54:55], 2
	s_add_u32 s4, s56, s4
	v_mov_b32_e32 v5, 0
	v_mbcnt_hi_u32_b32 v4, -1, v1
	s_addc_u32 s5, s57, s5
	v_lshlrev_b32_e32 v8, 2, v4
	v_mov_b32_e32 v9, v5
	v_lshl_add_u64 v[8:9], s[4:5], 0, v[8:9]
	s_load_dword s4, s[0:1], 0x5c
	s_load_dword s3, s[0:1], 0x50
	v_and_b32_e32 v2, 0x3ff, v0
	v_and_b32_e32 v1, 0x3c0, v2
	v_mul_u32_u24_e32 v6, 12, v1
	v_lshlrev_b32_e32 v10, 2, v6
	v_mov_b32_e32 v11, v5
	s_add_u32 s0, s0, 0x50
	v_lshl_add_u64 v[10:11], v[8:9], 0, v[10:11]
	s_addc_u32 s1, s1, 0
	s_waitcnt lgkmcnt(0)
	s_lshr_b32 s4, s4, 16
	global_load_dword v3, v[10:11], off
	s_cmp_lt_u32 s2, s3
	s_cselect_b32 s5, 12, 18
	s_add_u32 s0, s0, s5
	s_addc_u32 s1, s1, 0
	global_load_ushort v18, v5, s[0:1]
	v_mul_u32_u24_e32 v7, 5, v2
	v_lshlrev_b32_e32 v7, 2, v7
	ds_write2_b32 v7, v5, v5 offset0:16 offset1:17
	ds_write2_b32 v7, v5, v5 offset0:18 offset1:19
	ds_write_b32 v7, v5 offset:80
	global_load_dword v9, v[10:11], off offset:256
	global_load_dword v8, v[10:11], off offset:512
	;; [unrolled: 1-line block ×11, first 2 shown]
	v_bfe_u32 v13, v0, 10, 10
	v_bfe_u32 v0, v0, 20, 10
	s_lshl_b32 s0, -1, s69
	v_mad_u32_u24 v10, v0, s4, v13
	s_not_b32 s14, s0
	v_mov_b32_e32 v1, v5
	v_mov_b32_e32 v12, v5
	;; [unrolled: 1-line block ×5, first 2 shown]
	s_waitcnt lgkmcnt(0)
	s_barrier
	s_waitcnt lgkmcnt(0)
	; wave barrier
	s_waitcnt vmcnt(12)
	v_xor_b32_e32 v3, 0x80000000, v3
	v_lshrrev_b32_e32 v0, s68, v3
	v_and_b32_e32 v24, s14, v0
	v_and_b32_e32 v0, 1, v24
	v_lshlrev_b32_e32 v13, 30, v24
	v_lshlrev_b32_e32 v15, 29, v24
	s_waitcnt vmcnt(11)
	v_mad_u64_u32 v[10:11], s[0:1], v10, v18, v[2:3]
	v_lshl_add_u64 v[28:29], v[0:1], 0, -1
	v_cmp_ne_u32_e32 vcc, 0, v0
	v_not_b32_e32 v0, v13
	v_lshlrev_b32_e32 v17, 28, v24
	v_cmp_gt_i64_e64 s[0:1], 0, v[12:13]
	v_not_b32_e32 v1, v15
	v_lshrrev_b32_e32 v20, 6, v10
	v_xor_b32_e32 v10, vcc_hi, v29
	v_ashrrev_i32_e32 v0, 31, v0
	v_cmp_gt_i64_e64 s[4:5], 0, v[14:15]
	v_not_b32_e32 v11, v17
	v_xor_b32_e32 v13, vcc_lo, v28
	v_ashrrev_i32_e32 v1, 31, v1
	v_and_b32_e32 v10, exec_hi, v10
	v_xor_b32_e32 v14, s1, v0
	v_cmp_gt_i64_e64 s[6:7], 0, v[16:17]
	v_ashrrev_i32_e32 v11, 31, v11
	v_and_b32_e32 v13, exec_lo, v13
	v_xor_b32_e32 v0, s0, v0
	v_xor_b32_e32 v15, s5, v1
	v_and_b32_e32 v10, v10, v14
	v_lshlrev_b32_e32 v23, 27, v24
	v_xor_b32_e32 v1, s4, v1
	v_xor_b32_e32 v16, s7, v11
	v_and_b32_e32 v0, v13, v0
	v_and_b32_e32 v10, v10, v15
	;; [unrolled: 1-line block ×4, first 2 shown]
	v_not_b32_e32 v10, v23
	v_cmp_gt_i64_e64 s[8:9], 0, v[22:23]
	v_xor_b32_e32 v11, s6, v11
	v_ashrrev_i32_e32 v10, 31, v10
	v_and_b32_e32 v0, v0, v11
	v_xor_b32_e32 v11, s9, v10
	v_xor_b32_e32 v10, s8, v10
	v_and_b32_e32 v11, v1, v11
	v_and_b32_e32 v10, v0, v10
	v_lshlrev_b32_e32 v1, 26, v24
	v_mov_b32_e32 v0, v5
	v_cmp_gt_i64_e32 vcc, 0, v[0:1]
	v_not_b32_e32 v0, v1
	v_ashrrev_i32_e32 v0, 31, v0
	v_xor_b32_e32 v1, vcc_hi, v0
	v_xor_b32_e32 v0, vcc_lo, v0
	v_and_b32_e32 v11, v11, v1
	v_and_b32_e32 v10, v10, v0
	v_lshlrev_b32_e32 v1, 25, v24
	v_mov_b32_e32 v0, v5
	v_cmp_gt_i64_e32 vcc, 0, v[0:1]
	v_not_b32_e32 v0, v1
	v_ashrrev_i32_e32 v0, 31, v0
	v_xor_b32_e32 v1, vcc_hi, v0
	v_xor_b32_e32 v0, vcc_lo, v0
	;; [unrolled: 9-line block ×3, first 2 shown]
	v_and_b32_e32 v0, v10, v0
	v_and_b32_e32 v1, v11, v1
	v_mbcnt_lo_u32_b32 v10, v0, 0
	v_mbcnt_hi_u32_b32 v11, v1, v10
	v_lshl_add_u32 v27, v24, 4, v24
	v_cmp_eq_u32_e32 vcc, 0, v11
	v_cmp_ne_u64_e64 s[0:1], 0, v[0:1]
	v_add_lshl_u32 v12, v20, v27, 2
	s_and_b64 s[4:5], s[0:1], vcc
	s_and_saveexec_b64 s[0:1], s[4:5]
	s_cbranch_execz .LBB24_138
; %bb.137:
	v_bcnt_u32_b32 v0, v0, 0
	v_bcnt_u32_b32 v0, v1, v0
	ds_write_b32 v12, v0 offset:64
.LBB24_138:
	s_or_b64 exec, exec, s[0:1]
	s_waitcnt vmcnt(10)
	v_xor_b32_e32 v10, 0x80000000, v9
	v_lshrrev_b32_e32 v0, s68, v10
	v_and_b32_e32 v9, s14, v0
	v_lshl_add_u32 v0, v9, 4, v9
	v_add_lshl_u32 v14, v20, v0, 2
	v_and_b32_e32 v0, 1, v9
	v_mov_b32_e32 v1, v5
	v_lshl_add_u64 v[16:17], v[0:1], 0, -1
	v_cmp_ne_u32_e32 vcc, 0, v0
	; wave barrier
	s_nop 1
	v_xor_b32_e32 v0, vcc_hi, v17
	v_xor_b32_e32 v1, vcc_lo, v16
	v_and_b32_e32 v15, exec_hi, v0
	v_and_b32_e32 v16, exec_lo, v1
	v_lshlrev_b32_e32 v1, 30, v9
	v_mov_b32_e32 v0, v5
	v_cmp_gt_i64_e32 vcc, 0, v[0:1]
	v_not_b32_e32 v0, v1
	v_ashrrev_i32_e32 v0, 31, v0
	v_xor_b32_e32 v1, vcc_hi, v0
	v_xor_b32_e32 v0, vcc_lo, v0
	v_and_b32_e32 v15, v15, v1
	v_and_b32_e32 v16, v16, v0
	v_lshlrev_b32_e32 v1, 29, v9
	v_mov_b32_e32 v0, v5
	v_cmp_gt_i64_e32 vcc, 0, v[0:1]
	v_not_b32_e32 v0, v1
	v_ashrrev_i32_e32 v0, 31, v0
	v_xor_b32_e32 v1, vcc_hi, v0
	v_xor_b32_e32 v0, vcc_lo, v0
	v_and_b32_e32 v15, v15, v1
	v_and_b32_e32 v16, v16, v0
	;; [unrolled: 9-line block ×6, first 2 shown]
	v_lshlrev_b32_e32 v1, 24, v9
	v_mov_b32_e32 v0, v5
	v_cmp_gt_i64_e32 vcc, 0, v[0:1]
	v_not_b32_e32 v0, v1
	v_ashrrev_i32_e32 v0, 31, v0
	v_xor_b32_e32 v1, vcc_hi, v0
	v_xor_b32_e32 v0, vcc_lo, v0
	ds_read_b32 v13, v14 offset:64
	v_and_b32_e32 v0, v16, v0
	v_and_b32_e32 v1, v15, v1
	v_mbcnt_lo_u32_b32 v9, v0, 0
	v_mbcnt_hi_u32_b32 v16, v1, v9
	v_cmp_eq_u32_e32 vcc, 0, v16
	v_cmp_ne_u64_e64 s[0:1], 0, v[0:1]
	s_and_b64 s[4:5], s[0:1], vcc
	; wave barrier
	s_and_saveexec_b64 s[0:1], s[4:5]
	s_cbranch_execz .LBB24_140
; %bb.139:
	v_bcnt_u32_b32 v0, v0, 0
	v_bcnt_u32_b32 v0, v1, v0
	s_waitcnt lgkmcnt(0)
	v_add_u32_e32 v0, v13, v0
	ds_write_b32 v14, v0 offset:64
.LBB24_140:
	s_or_b64 exec, exec, s[0:1]
	s_waitcnt vmcnt(9)
	v_xor_b32_e32 v15, 0x80000000, v8
	v_lshrrev_b32_e32 v0, s68, v15
	v_and_b32_e32 v22, s14, v0
	v_lshl_add_u32 v0, v22, 4, v22
	v_add_lshl_u32 v18, v20, v0, 2
	v_and_b32_e32 v0, 1, v22
	v_mov_b32_e32 v1, 0
	v_lshl_add_u64 v[8:9], v[0:1], 0, -1
	v_cmp_ne_u32_e32 vcc, 0, v0
	; wave barrier
	s_nop 1
	v_xor_b32_e32 v8, vcc_lo, v8
	v_xor_b32_e32 v0, vcc_hi, v9
	v_and_b32_e32 v23, exec_lo, v8
	v_lshlrev_b32_e32 v9, 30, v22
	v_mov_b32_e32 v8, v1
	v_cmp_gt_i64_e32 vcc, 0, v[8:9]
	v_not_b32_e32 v8, v9
	v_ashrrev_i32_e32 v8, 31, v8
	v_and_b32_e32 v0, exec_hi, v0
	v_xor_b32_e32 v9, vcc_hi, v8
	v_xor_b32_e32 v8, vcc_lo, v8
	v_and_b32_e32 v0, v0, v9
	v_and_b32_e32 v23, v23, v8
	v_lshlrev_b32_e32 v9, 29, v22
	v_mov_b32_e32 v8, v1
	v_cmp_gt_i64_e32 vcc, 0, v[8:9]
	v_not_b32_e32 v8, v9
	v_ashrrev_i32_e32 v8, 31, v8
	v_xor_b32_e32 v9, vcc_hi, v8
	v_xor_b32_e32 v8, vcc_lo, v8
	v_and_b32_e32 v0, v0, v9
	v_and_b32_e32 v23, v23, v8
	v_lshlrev_b32_e32 v9, 28, v22
	v_mov_b32_e32 v8, v1
	v_cmp_gt_i64_e32 vcc, 0, v[8:9]
	v_not_b32_e32 v8, v9
	v_ashrrev_i32_e32 v8, 31, v8
	v_xor_b32_e32 v9, vcc_hi, v8
	v_xor_b32_e32 v8, vcc_lo, v8
	v_and_b32_e32 v0, v0, v9
	v_and_b32_e32 v23, v23, v8
	v_lshlrev_b32_e32 v9, 27, v22
	v_mov_b32_e32 v8, v1
	v_cmp_gt_i64_e32 vcc, 0, v[8:9]
	v_not_b32_e32 v8, v9
	v_ashrrev_i32_e32 v8, 31, v8
	v_xor_b32_e32 v9, vcc_hi, v8
	v_xor_b32_e32 v8, vcc_lo, v8
	v_and_b32_e32 v0, v0, v9
	v_and_b32_e32 v23, v23, v8
	v_lshlrev_b32_e32 v9, 26, v22
	v_mov_b32_e32 v8, v1
	v_cmp_gt_i64_e32 vcc, 0, v[8:9]
	v_not_b32_e32 v8, v9
	v_ashrrev_i32_e32 v8, 31, v8
	v_xor_b32_e32 v9, vcc_hi, v8
	v_xor_b32_e32 v8, vcc_lo, v8
	v_and_b32_e32 v0, v0, v9
	v_and_b32_e32 v23, v23, v8
	v_lshlrev_b32_e32 v9, 25, v22
	v_mov_b32_e32 v8, v1
	v_cmp_gt_i64_e32 vcc, 0, v[8:9]
	v_not_b32_e32 v8, v9
	v_ashrrev_i32_e32 v8, 31, v8
	v_xor_b32_e32 v9, vcc_hi, v8
	v_xor_b32_e32 v8, vcc_lo, v8
	v_and_b32_e32 v0, v0, v9
	v_and_b32_e32 v23, v23, v8
	v_lshlrev_b32_e32 v9, 24, v22
	v_mov_b32_e32 v8, v1
	v_cmp_gt_i64_e32 vcc, 0, v[8:9]
	v_not_b32_e32 v8, v9
	v_ashrrev_i32_e32 v8, 31, v8
	v_xor_b32_e32 v9, vcc_hi, v8
	v_xor_b32_e32 v8, vcc_lo, v8
	ds_read_b32 v17, v18 offset:64
	v_and_b32_e32 v8, v23, v8
	v_and_b32_e32 v9, v0, v9
	v_mbcnt_lo_u32_b32 v0, v8, 0
	v_mbcnt_hi_u32_b32 v22, v9, v0
	v_cmp_eq_u32_e32 vcc, 0, v22
	v_cmp_ne_u64_e64 s[0:1], 0, v[8:9]
	s_and_b64 s[4:5], s[0:1], vcc
	; wave barrier
	s_and_saveexec_b64 s[0:1], s[4:5]
	s_cbranch_execz .LBB24_142
; %bb.141:
	v_bcnt_u32_b32 v0, v8, 0
	v_bcnt_u32_b32 v0, v9, v0
	s_waitcnt lgkmcnt(0)
	v_add_u32_e32 v0, v17, v0
	ds_write_b32 v18, v0 offset:64
.LBB24_142:
	s_or_b64 exec, exec, s[0:1]
	s_waitcnt vmcnt(8)
	v_xor_b32_e32 v21, 0x80000000, v21
	v_lshrrev_b32_e32 v0, s68, v21
	v_and_b32_e32 v27, s14, v0
	v_lshl_add_u32 v0, v27, 4, v27
	v_add_lshl_u32 v24, v20, v0, 2
	v_and_b32_e32 v0, 1, v27
	v_lshl_add_u64 v[8:9], v[0:1], 0, -1
	v_cmp_ne_u32_e32 vcc, 0, v0
	; wave barrier
	s_nop 1
	v_xor_b32_e32 v8, vcc_lo, v8
	v_xor_b32_e32 v0, vcc_hi, v9
	v_and_b32_e32 v28, exec_lo, v8
	v_lshlrev_b32_e32 v9, 30, v27
	v_mov_b32_e32 v8, v1
	v_cmp_gt_i64_e32 vcc, 0, v[8:9]
	v_not_b32_e32 v8, v9
	v_ashrrev_i32_e32 v8, 31, v8
	v_and_b32_e32 v0, exec_hi, v0
	v_xor_b32_e32 v9, vcc_hi, v8
	v_xor_b32_e32 v8, vcc_lo, v8
	v_and_b32_e32 v0, v0, v9
	v_and_b32_e32 v28, v28, v8
	v_lshlrev_b32_e32 v9, 29, v27
	v_mov_b32_e32 v8, v1
	v_cmp_gt_i64_e32 vcc, 0, v[8:9]
	v_not_b32_e32 v8, v9
	v_ashrrev_i32_e32 v8, 31, v8
	v_xor_b32_e32 v9, vcc_hi, v8
	v_xor_b32_e32 v8, vcc_lo, v8
	v_and_b32_e32 v0, v0, v9
	v_and_b32_e32 v28, v28, v8
	v_lshlrev_b32_e32 v9, 28, v27
	v_mov_b32_e32 v8, v1
	v_cmp_gt_i64_e32 vcc, 0, v[8:9]
	v_not_b32_e32 v8, v9
	v_ashrrev_i32_e32 v8, 31, v8
	;; [unrolled: 9-line block ×5, first 2 shown]
	v_xor_b32_e32 v9, vcc_hi, v8
	v_xor_b32_e32 v8, vcc_lo, v8
	v_and_b32_e32 v0, v0, v9
	v_lshlrev_b32_e32 v9, 24, v27
	v_and_b32_e32 v28, v28, v8
	v_mov_b32_e32 v8, v1
	v_not_b32_e32 v1, v9
	v_cmp_gt_i64_e32 vcc, 0, v[8:9]
	v_ashrrev_i32_e32 v1, 31, v1
	ds_read_b32 v23, v24 offset:64
	v_xor_b32_e32 v8, vcc_hi, v1
	v_xor_b32_e32 v9, vcc_lo, v1
	v_and_b32_e32 v1, v0, v8
	v_and_b32_e32 v0, v28, v9
	v_mbcnt_lo_u32_b32 v8, v0, 0
	v_mbcnt_hi_u32_b32 v27, v1, v8
	v_cmp_eq_u32_e32 vcc, 0, v27
	v_cmp_ne_u64_e64 s[0:1], 0, v[0:1]
	s_and_b64 s[4:5], s[0:1], vcc
	; wave barrier
	s_and_saveexec_b64 s[0:1], s[4:5]
	s_cbranch_execz .LBB24_144
; %bb.143:
	v_bcnt_u32_b32 v0, v0, 0
	v_bcnt_u32_b32 v0, v1, v0
	s_waitcnt lgkmcnt(0)
	v_add_u32_e32 v0, v23, v0
	ds_write_b32 v24, v0 offset:64
.LBB24_144:
	s_or_b64 exec, exec, s[0:1]
	s_waitcnt vmcnt(7)
	v_xor_b32_e32 v26, 0x80000000, v26
	v_lshrrev_b32_e32 v0, s68, v26
	v_and_b32_e32 v32, s14, v0
	v_lshl_add_u32 v0, v32, 4, v32
	v_add_lshl_u32 v29, v20, v0, 2
	v_and_b32_e32 v0, 1, v32
	v_mov_b32_e32 v1, 0
	v_lshl_add_u64 v[8:9], v[0:1], 0, -1
	v_cmp_ne_u32_e32 vcc, 0, v0
	; wave barrier
	s_nop 1
	v_xor_b32_e32 v8, vcc_lo, v8
	v_xor_b32_e32 v0, vcc_hi, v9
	v_and_b32_e32 v33, exec_lo, v8
	v_lshlrev_b32_e32 v9, 30, v32
	v_mov_b32_e32 v8, v1
	v_cmp_gt_i64_e32 vcc, 0, v[8:9]
	v_not_b32_e32 v8, v9
	v_ashrrev_i32_e32 v8, 31, v8
	v_and_b32_e32 v0, exec_hi, v0
	v_xor_b32_e32 v9, vcc_hi, v8
	v_xor_b32_e32 v8, vcc_lo, v8
	v_and_b32_e32 v0, v0, v9
	v_and_b32_e32 v33, v33, v8
	v_lshlrev_b32_e32 v9, 29, v32
	v_mov_b32_e32 v8, v1
	v_cmp_gt_i64_e32 vcc, 0, v[8:9]
	v_not_b32_e32 v8, v9
	v_ashrrev_i32_e32 v8, 31, v8
	v_xor_b32_e32 v9, vcc_hi, v8
	v_xor_b32_e32 v8, vcc_lo, v8
	v_and_b32_e32 v0, v0, v9
	v_and_b32_e32 v33, v33, v8
	v_lshlrev_b32_e32 v9, 28, v32
	v_mov_b32_e32 v8, v1
	v_cmp_gt_i64_e32 vcc, 0, v[8:9]
	v_not_b32_e32 v8, v9
	v_ashrrev_i32_e32 v8, 31, v8
	;; [unrolled: 9-line block ×6, first 2 shown]
	v_xor_b32_e32 v9, vcc_hi, v8
	v_xor_b32_e32 v8, vcc_lo, v8
	ds_read_b32 v28, v29 offset:64
	v_and_b32_e32 v8, v33, v8
	v_and_b32_e32 v9, v0, v9
	v_mbcnt_lo_u32_b32 v0, v8, 0
	v_mbcnt_hi_u32_b32 v32, v9, v0
	v_cmp_eq_u32_e32 vcc, 0, v32
	v_cmp_ne_u64_e64 s[0:1], 0, v[8:9]
	s_and_b64 s[4:5], s[0:1], vcc
	; wave barrier
	s_and_saveexec_b64 s[0:1], s[4:5]
	s_cbranch_execz .LBB24_146
; %bb.145:
	v_bcnt_u32_b32 v0, v8, 0
	v_bcnt_u32_b32 v0, v9, v0
	s_waitcnt lgkmcnt(0)
	v_add_u32_e32 v0, v28, v0
	ds_write_b32 v29, v0 offset:64
.LBB24_146:
	s_or_b64 exec, exec, s[0:1]
	s_waitcnt vmcnt(6)
	v_xor_b32_e32 v31, 0x80000000, v31
	v_lshrrev_b32_e32 v0, s68, v31
	v_and_b32_e32 v37, s14, v0
	v_lshl_add_u32 v0, v37, 4, v37
	v_add_lshl_u32 v34, v20, v0, 2
	v_and_b32_e32 v0, 1, v37
	v_lshl_add_u64 v[8:9], v[0:1], 0, -1
	v_cmp_ne_u32_e32 vcc, 0, v0
	; wave barrier
	s_nop 1
	v_xor_b32_e32 v8, vcc_lo, v8
	v_xor_b32_e32 v0, vcc_hi, v9
	v_and_b32_e32 v38, exec_lo, v8
	v_lshlrev_b32_e32 v9, 30, v37
	v_mov_b32_e32 v8, v1
	v_cmp_gt_i64_e32 vcc, 0, v[8:9]
	v_not_b32_e32 v8, v9
	v_ashrrev_i32_e32 v8, 31, v8
	v_and_b32_e32 v0, exec_hi, v0
	v_xor_b32_e32 v9, vcc_hi, v8
	v_xor_b32_e32 v8, vcc_lo, v8
	v_and_b32_e32 v0, v0, v9
	v_and_b32_e32 v38, v38, v8
	v_lshlrev_b32_e32 v9, 29, v37
	v_mov_b32_e32 v8, v1
	v_cmp_gt_i64_e32 vcc, 0, v[8:9]
	v_not_b32_e32 v8, v9
	v_ashrrev_i32_e32 v8, 31, v8
	v_xor_b32_e32 v9, vcc_hi, v8
	v_xor_b32_e32 v8, vcc_lo, v8
	v_and_b32_e32 v0, v0, v9
	v_and_b32_e32 v38, v38, v8
	v_lshlrev_b32_e32 v9, 28, v37
	v_mov_b32_e32 v8, v1
	v_cmp_gt_i64_e32 vcc, 0, v[8:9]
	v_not_b32_e32 v8, v9
	v_ashrrev_i32_e32 v8, 31, v8
	;; [unrolled: 9-line block ×5, first 2 shown]
	v_xor_b32_e32 v9, vcc_hi, v8
	v_xor_b32_e32 v8, vcc_lo, v8
	v_and_b32_e32 v0, v0, v9
	v_lshlrev_b32_e32 v9, 24, v37
	v_and_b32_e32 v38, v38, v8
	v_mov_b32_e32 v8, v1
	v_not_b32_e32 v1, v9
	v_cmp_gt_i64_e32 vcc, 0, v[8:9]
	v_ashrrev_i32_e32 v1, 31, v1
	ds_read_b32 v33, v34 offset:64
	v_xor_b32_e32 v8, vcc_hi, v1
	v_xor_b32_e32 v9, vcc_lo, v1
	v_and_b32_e32 v1, v0, v8
	v_and_b32_e32 v0, v38, v9
	v_mbcnt_lo_u32_b32 v8, v0, 0
	v_mbcnt_hi_u32_b32 v37, v1, v8
	v_cmp_eq_u32_e32 vcc, 0, v37
	v_cmp_ne_u64_e64 s[0:1], 0, v[0:1]
	s_and_b64 s[4:5], s[0:1], vcc
	; wave barrier
	s_and_saveexec_b64 s[0:1], s[4:5]
	s_cbranch_execz .LBB24_148
; %bb.147:
	v_bcnt_u32_b32 v0, v0, 0
	v_bcnt_u32_b32 v0, v1, v0
	s_waitcnt lgkmcnt(0)
	v_add_u32_e32 v0, v33, v0
	ds_write_b32 v34, v0 offset:64
.LBB24_148:
	s_or_b64 exec, exec, s[0:1]
	s_waitcnt vmcnt(5)
	v_xor_b32_e32 v36, 0x80000000, v36
	v_lshrrev_b32_e32 v0, s68, v36
	v_and_b32_e32 v41, s14, v0
	v_lshl_add_u32 v0, v41, 4, v41
	v_add_lshl_u32 v39, v20, v0, 2
	v_and_b32_e32 v0, 1, v41
	v_mov_b32_e32 v1, 0
	v_lshl_add_u64 v[8:9], v[0:1], 0, -1
	v_cmp_ne_u32_e32 vcc, 0, v0
	; wave barrier
	s_nop 1
	v_xor_b32_e32 v8, vcc_lo, v8
	v_xor_b32_e32 v0, vcc_hi, v9
	v_and_b32_e32 v42, exec_lo, v8
	v_lshlrev_b32_e32 v9, 30, v41
	v_mov_b32_e32 v8, v1
	v_cmp_gt_i64_e32 vcc, 0, v[8:9]
	v_not_b32_e32 v8, v9
	v_ashrrev_i32_e32 v8, 31, v8
	v_and_b32_e32 v0, exec_hi, v0
	v_xor_b32_e32 v9, vcc_hi, v8
	v_xor_b32_e32 v8, vcc_lo, v8
	v_and_b32_e32 v0, v0, v9
	v_and_b32_e32 v42, v42, v8
	v_lshlrev_b32_e32 v9, 29, v41
	v_mov_b32_e32 v8, v1
	v_cmp_gt_i64_e32 vcc, 0, v[8:9]
	v_not_b32_e32 v8, v9
	v_ashrrev_i32_e32 v8, 31, v8
	v_xor_b32_e32 v9, vcc_hi, v8
	v_xor_b32_e32 v8, vcc_lo, v8
	v_and_b32_e32 v0, v0, v9
	v_and_b32_e32 v42, v42, v8
	v_lshlrev_b32_e32 v9, 28, v41
	v_mov_b32_e32 v8, v1
	v_cmp_gt_i64_e32 vcc, 0, v[8:9]
	v_not_b32_e32 v8, v9
	v_ashrrev_i32_e32 v8, 31, v8
	;; [unrolled: 9-line block ×6, first 2 shown]
	v_xor_b32_e32 v9, vcc_hi, v8
	v_xor_b32_e32 v8, vcc_lo, v8
	ds_read_b32 v38, v39 offset:64
	v_and_b32_e32 v8, v42, v8
	v_and_b32_e32 v9, v0, v9
	v_mbcnt_lo_u32_b32 v0, v8, 0
	v_mbcnt_hi_u32_b32 v41, v9, v0
	v_cmp_eq_u32_e32 vcc, 0, v41
	v_cmp_ne_u64_e64 s[0:1], 0, v[8:9]
	s_and_b64 s[4:5], s[0:1], vcc
	; wave barrier
	s_and_saveexec_b64 s[0:1], s[4:5]
	s_cbranch_execz .LBB24_150
; %bb.149:
	v_bcnt_u32_b32 v0, v8, 0
	v_bcnt_u32_b32 v0, v9, v0
	s_waitcnt lgkmcnt(0)
	v_add_u32_e32 v0, v38, v0
	ds_write_b32 v39, v0 offset:64
.LBB24_150:
	s_or_b64 exec, exec, s[0:1]
	s_waitcnt vmcnt(4)
	v_xor_b32_e32 v40, 0x80000000, v40
	v_lshrrev_b32_e32 v0, s68, v40
	v_and_b32_e32 v44, s14, v0
	v_lshl_add_u32 v0, v44, 4, v44
	v_add_lshl_u32 v43, v20, v0, 2
	v_and_b32_e32 v0, 1, v44
	v_lshl_add_u64 v[8:9], v[0:1], 0, -1
	v_cmp_ne_u32_e32 vcc, 0, v0
	; wave barrier
	s_nop 1
	v_xor_b32_e32 v8, vcc_lo, v8
	v_xor_b32_e32 v0, vcc_hi, v9
	v_and_b32_e32 v45, exec_lo, v8
	v_lshlrev_b32_e32 v9, 30, v44
	v_mov_b32_e32 v8, v1
	v_cmp_gt_i64_e32 vcc, 0, v[8:9]
	v_not_b32_e32 v8, v9
	v_ashrrev_i32_e32 v8, 31, v8
	v_and_b32_e32 v0, exec_hi, v0
	v_xor_b32_e32 v9, vcc_hi, v8
	v_xor_b32_e32 v8, vcc_lo, v8
	v_and_b32_e32 v0, v0, v9
	v_and_b32_e32 v45, v45, v8
	v_lshlrev_b32_e32 v9, 29, v44
	v_mov_b32_e32 v8, v1
	v_cmp_gt_i64_e32 vcc, 0, v[8:9]
	v_not_b32_e32 v8, v9
	v_ashrrev_i32_e32 v8, 31, v8
	v_xor_b32_e32 v9, vcc_hi, v8
	v_xor_b32_e32 v8, vcc_lo, v8
	v_and_b32_e32 v0, v0, v9
	v_and_b32_e32 v45, v45, v8
	v_lshlrev_b32_e32 v9, 28, v44
	v_mov_b32_e32 v8, v1
	v_cmp_gt_i64_e32 vcc, 0, v[8:9]
	v_not_b32_e32 v8, v9
	v_ashrrev_i32_e32 v8, 31, v8
	;; [unrolled: 9-line block ×5, first 2 shown]
	v_xor_b32_e32 v9, vcc_hi, v8
	v_xor_b32_e32 v8, vcc_lo, v8
	v_and_b32_e32 v0, v0, v9
	v_lshlrev_b32_e32 v9, 24, v44
	v_and_b32_e32 v45, v45, v8
	v_mov_b32_e32 v8, v1
	v_not_b32_e32 v1, v9
	v_cmp_gt_i64_e32 vcc, 0, v[8:9]
	v_ashrrev_i32_e32 v1, 31, v1
	ds_read_b32 v42, v43 offset:64
	v_xor_b32_e32 v8, vcc_hi, v1
	v_xor_b32_e32 v9, vcc_lo, v1
	v_and_b32_e32 v1, v0, v8
	v_and_b32_e32 v0, v45, v9
	v_mbcnt_lo_u32_b32 v8, v0, 0
	v_mbcnt_hi_u32_b32 v44, v1, v8
	v_cmp_eq_u32_e32 vcc, 0, v44
	v_cmp_ne_u64_e64 s[0:1], 0, v[0:1]
	s_and_b64 s[4:5], s[0:1], vcc
	; wave barrier
	s_and_saveexec_b64 s[0:1], s[4:5]
	s_cbranch_execz .LBB24_152
; %bb.151:
	v_bcnt_u32_b32 v0, v0, 0
	v_bcnt_u32_b32 v0, v1, v0
	s_waitcnt lgkmcnt(0)
	v_add_u32_e32 v0, v42, v0
	ds_write_b32 v43, v0 offset:64
.LBB24_152:
	s_or_b64 exec, exec, s[0:1]
	s_waitcnt vmcnt(3)
	v_xor_b32_e32 v35, 0x80000000, v35
	v_lshrrev_b32_e32 v0, s68, v35
	v_and_b32_e32 v47, s14, v0
	v_lshl_add_u32 v0, v47, 4, v47
	v_add_lshl_u32 v46, v20, v0, 2
	v_and_b32_e32 v0, 1, v47
	v_mov_b32_e32 v1, 0
	v_lshl_add_u64 v[8:9], v[0:1], 0, -1
	v_cmp_ne_u32_e32 vcc, 0, v0
	; wave barrier
	s_nop 1
	v_xor_b32_e32 v8, vcc_lo, v8
	v_xor_b32_e32 v0, vcc_hi, v9
	v_and_b32_e32 v48, exec_lo, v8
	v_lshlrev_b32_e32 v9, 30, v47
	v_mov_b32_e32 v8, v1
	v_cmp_gt_i64_e32 vcc, 0, v[8:9]
	v_not_b32_e32 v8, v9
	v_ashrrev_i32_e32 v8, 31, v8
	v_and_b32_e32 v0, exec_hi, v0
	v_xor_b32_e32 v9, vcc_hi, v8
	v_xor_b32_e32 v8, vcc_lo, v8
	v_and_b32_e32 v0, v0, v9
	v_and_b32_e32 v48, v48, v8
	v_lshlrev_b32_e32 v9, 29, v47
	v_mov_b32_e32 v8, v1
	v_cmp_gt_i64_e32 vcc, 0, v[8:9]
	v_not_b32_e32 v8, v9
	v_ashrrev_i32_e32 v8, 31, v8
	v_xor_b32_e32 v9, vcc_hi, v8
	v_xor_b32_e32 v8, vcc_lo, v8
	v_and_b32_e32 v0, v0, v9
	v_and_b32_e32 v48, v48, v8
	v_lshlrev_b32_e32 v9, 28, v47
	v_mov_b32_e32 v8, v1
	v_cmp_gt_i64_e32 vcc, 0, v[8:9]
	v_not_b32_e32 v8, v9
	v_ashrrev_i32_e32 v8, 31, v8
	;; [unrolled: 9-line block ×6, first 2 shown]
	v_xor_b32_e32 v9, vcc_hi, v8
	v_xor_b32_e32 v8, vcc_lo, v8
	ds_read_b32 v45, v46 offset:64
	v_and_b32_e32 v8, v48, v8
	v_and_b32_e32 v9, v0, v9
	v_mbcnt_lo_u32_b32 v0, v8, 0
	v_mbcnt_hi_u32_b32 v47, v9, v0
	v_cmp_eq_u32_e32 vcc, 0, v47
	v_cmp_ne_u64_e64 s[0:1], 0, v[8:9]
	s_and_b64 s[4:5], s[0:1], vcc
	; wave barrier
	s_and_saveexec_b64 s[0:1], s[4:5]
	s_cbranch_execz .LBB24_154
; %bb.153:
	v_bcnt_u32_b32 v0, v8, 0
	v_bcnt_u32_b32 v0, v9, v0
	s_waitcnt lgkmcnt(0)
	v_add_u32_e32 v0, v45, v0
	ds_write_b32 v46, v0 offset:64
.LBB24_154:
	s_or_b64 exec, exec, s[0:1]
	s_waitcnt vmcnt(2)
	v_xor_b32_e32 v30, 0x80000000, v30
	v_lshrrev_b32_e32 v0, s68, v30
	v_and_b32_e32 v50, s14, v0
	v_lshl_add_u32 v0, v50, 4, v50
	v_add_lshl_u32 v49, v20, v0, 2
	v_and_b32_e32 v0, 1, v50
	v_lshl_add_u64 v[8:9], v[0:1], 0, -1
	v_cmp_ne_u32_e32 vcc, 0, v0
	; wave barrier
	s_nop 1
	v_xor_b32_e32 v8, vcc_lo, v8
	v_xor_b32_e32 v0, vcc_hi, v9
	v_and_b32_e32 v51, exec_lo, v8
	v_lshlrev_b32_e32 v9, 30, v50
	v_mov_b32_e32 v8, v1
	v_cmp_gt_i64_e32 vcc, 0, v[8:9]
	v_not_b32_e32 v8, v9
	v_ashrrev_i32_e32 v8, 31, v8
	v_and_b32_e32 v0, exec_hi, v0
	v_xor_b32_e32 v9, vcc_hi, v8
	v_xor_b32_e32 v8, vcc_lo, v8
	v_and_b32_e32 v0, v0, v9
	v_and_b32_e32 v51, v51, v8
	v_lshlrev_b32_e32 v9, 29, v50
	v_mov_b32_e32 v8, v1
	v_cmp_gt_i64_e32 vcc, 0, v[8:9]
	v_not_b32_e32 v8, v9
	v_ashrrev_i32_e32 v8, 31, v8
	v_xor_b32_e32 v9, vcc_hi, v8
	v_xor_b32_e32 v8, vcc_lo, v8
	v_and_b32_e32 v0, v0, v9
	v_and_b32_e32 v51, v51, v8
	v_lshlrev_b32_e32 v9, 28, v50
	v_mov_b32_e32 v8, v1
	v_cmp_gt_i64_e32 vcc, 0, v[8:9]
	v_not_b32_e32 v8, v9
	v_ashrrev_i32_e32 v8, 31, v8
	;; [unrolled: 9-line block ×5, first 2 shown]
	v_xor_b32_e32 v9, vcc_hi, v8
	v_xor_b32_e32 v8, vcc_lo, v8
	v_and_b32_e32 v0, v0, v9
	v_lshlrev_b32_e32 v9, 24, v50
	v_and_b32_e32 v51, v51, v8
	v_mov_b32_e32 v8, v1
	v_not_b32_e32 v1, v9
	v_cmp_gt_i64_e32 vcc, 0, v[8:9]
	v_ashrrev_i32_e32 v1, 31, v1
	ds_read_b32 v48, v49 offset:64
	v_xor_b32_e32 v8, vcc_hi, v1
	v_xor_b32_e32 v9, vcc_lo, v1
	v_and_b32_e32 v1, v0, v8
	v_and_b32_e32 v0, v51, v9
	v_mbcnt_lo_u32_b32 v8, v0, 0
	v_mbcnt_hi_u32_b32 v51, v1, v8
	v_cmp_eq_u32_e32 vcc, 0, v51
	v_cmp_ne_u64_e64 s[0:1], 0, v[0:1]
	s_and_b64 s[4:5], s[0:1], vcc
	; wave barrier
	s_and_saveexec_b64 s[0:1], s[4:5]
	s_cbranch_execz .LBB24_156
; %bb.155:
	v_bcnt_u32_b32 v0, v0, 0
	v_bcnt_u32_b32 v0, v1, v0
	s_waitcnt lgkmcnt(0)
	v_add_u32_e32 v0, v48, v0
	ds_write_b32 v49, v0 offset:64
.LBB24_156:
	s_or_b64 exec, exec, s[0:1]
	s_waitcnt vmcnt(1)
	v_xor_b32_e32 v50, 0x80000000, v25
	v_lshrrev_b32_e32 v0, s68, v50
	v_and_b32_e32 v53, s14, v0
	v_lshl_add_u32 v0, v53, 4, v53
	v_add_lshl_u32 v25, v20, v0, 2
	v_and_b32_e32 v0, 1, v53
	v_mov_b32_e32 v1, 0
	v_lshl_add_u64 v[8:9], v[0:1], 0, -1
	v_cmp_ne_u32_e32 vcc, 0, v0
	; wave barrier
	s_nop 1
	v_xor_b32_e32 v8, vcc_lo, v8
	v_xor_b32_e32 v0, vcc_hi, v9
	v_and_b32_e32 v54, exec_lo, v8
	v_lshlrev_b32_e32 v9, 30, v53
	v_mov_b32_e32 v8, v1
	v_cmp_gt_i64_e32 vcc, 0, v[8:9]
	v_not_b32_e32 v8, v9
	v_ashrrev_i32_e32 v8, 31, v8
	v_and_b32_e32 v0, exec_hi, v0
	v_xor_b32_e32 v9, vcc_hi, v8
	v_xor_b32_e32 v8, vcc_lo, v8
	v_and_b32_e32 v0, v0, v9
	v_and_b32_e32 v54, v54, v8
	v_lshlrev_b32_e32 v9, 29, v53
	v_mov_b32_e32 v8, v1
	v_cmp_gt_i64_e32 vcc, 0, v[8:9]
	v_not_b32_e32 v8, v9
	v_ashrrev_i32_e32 v8, 31, v8
	v_xor_b32_e32 v9, vcc_hi, v8
	v_xor_b32_e32 v8, vcc_lo, v8
	v_and_b32_e32 v0, v0, v9
	v_and_b32_e32 v54, v54, v8
	v_lshlrev_b32_e32 v9, 28, v53
	v_mov_b32_e32 v8, v1
	v_cmp_gt_i64_e32 vcc, 0, v[8:9]
	v_not_b32_e32 v8, v9
	v_ashrrev_i32_e32 v8, 31, v8
	;; [unrolled: 9-line block ×6, first 2 shown]
	v_xor_b32_e32 v9, vcc_hi, v8
	v_xor_b32_e32 v8, vcc_lo, v8
	ds_read_b32 v52, v25 offset:64
	v_and_b32_e32 v8, v54, v8
	v_and_b32_e32 v9, v0, v9
	v_mbcnt_lo_u32_b32 v0, v8, 0
	v_mbcnt_hi_u32_b32 v54, v9, v0
	v_cmp_eq_u32_e32 vcc, 0, v54
	v_cmp_ne_u64_e64 s[0:1], 0, v[8:9]
	s_and_b64 s[4:5], s[0:1], vcc
	; wave barrier
	s_and_saveexec_b64 s[0:1], s[4:5]
	s_cbranch_execz .LBB24_158
; %bb.157:
	v_bcnt_u32_b32 v0, v8, 0
	v_bcnt_u32_b32 v0, v9, v0
	s_waitcnt lgkmcnt(0)
	v_add_u32_e32 v0, v52, v0
	ds_write_b32 v25, v0 offset:64
.LBB24_158:
	s_or_b64 exec, exec, s[0:1]
	s_waitcnt vmcnt(0)
	v_xor_b32_e32 v53, 0x80000000, v19
	v_lshrrev_b32_e32 v0, s68, v53
	v_and_b32_e32 v19, s14, v0
	v_lshl_add_u32 v0, v19, 4, v19
	v_add_lshl_u32 v55, v20, v0, 2
	v_and_b32_e32 v0, 1, v19
	v_lshl_add_u64 v[8:9], v[0:1], 0, -1
	v_cmp_ne_u32_e32 vcc, 0, v0
	; wave barrier
	s_nop 1
	v_xor_b32_e32 v8, vcc_lo, v8
	v_xor_b32_e32 v0, vcc_hi, v9
	v_and_b32_e32 v57, exec_lo, v8
	v_lshlrev_b32_e32 v9, 30, v19
	v_mov_b32_e32 v8, v1
	v_cmp_gt_i64_e32 vcc, 0, v[8:9]
	v_not_b32_e32 v8, v9
	v_ashrrev_i32_e32 v8, 31, v8
	v_and_b32_e32 v0, exec_hi, v0
	v_xor_b32_e32 v9, vcc_hi, v8
	v_xor_b32_e32 v8, vcc_lo, v8
	v_and_b32_e32 v0, v0, v9
	v_and_b32_e32 v57, v57, v8
	v_lshlrev_b32_e32 v9, 29, v19
	v_mov_b32_e32 v8, v1
	v_cmp_gt_i64_e32 vcc, 0, v[8:9]
	v_not_b32_e32 v8, v9
	v_ashrrev_i32_e32 v8, 31, v8
	v_xor_b32_e32 v9, vcc_hi, v8
	v_xor_b32_e32 v8, vcc_lo, v8
	v_and_b32_e32 v0, v0, v9
	v_and_b32_e32 v57, v57, v8
	v_lshlrev_b32_e32 v9, 28, v19
	v_mov_b32_e32 v8, v1
	v_cmp_gt_i64_e32 vcc, 0, v[8:9]
	v_not_b32_e32 v8, v9
	v_ashrrev_i32_e32 v8, 31, v8
	;; [unrolled: 9-line block ×5, first 2 shown]
	v_xor_b32_e32 v9, vcc_hi, v8
	v_xor_b32_e32 v8, vcc_lo, v8
	v_and_b32_e32 v0, v0, v9
	v_lshlrev_b32_e32 v9, 24, v19
	v_and_b32_e32 v57, v57, v8
	v_mov_b32_e32 v8, v1
	v_not_b32_e32 v1, v9
	v_cmp_gt_i64_e32 vcc, 0, v[8:9]
	v_ashrrev_i32_e32 v1, 31, v1
	ds_read_b32 v20, v55 offset:64
	v_xor_b32_e32 v8, vcc_hi, v1
	v_xor_b32_e32 v9, vcc_lo, v1
	v_and_b32_e32 v1, v0, v8
	v_and_b32_e32 v0, v57, v9
	v_mbcnt_lo_u32_b32 v8, v0, 0
	v_mbcnt_hi_u32_b32 v57, v1, v8
	v_cmp_eq_u32_e32 vcc, 0, v57
	v_cmp_ne_u64_e64 s[0:1], 0, v[0:1]
	v_add_u32_e32 v56, 64, v7
	s_and_b64 s[4:5], s[0:1], vcc
	; wave barrier
	s_and_saveexec_b64 s[0:1], s[4:5]
	s_cbranch_execz .LBB24_160
; %bb.159:
	v_bcnt_u32_b32 v0, v0, 0
	v_bcnt_u32_b32 v0, v1, v0
	s_waitcnt lgkmcnt(0)
	v_add_u32_e32 v0, v20, v0
	ds_write_b32 v55, v0 offset:64
.LBB24_160:
	s_or_b64 exec, exec, s[0:1]
	; wave barrier
	s_waitcnt lgkmcnt(0)
	s_barrier
	ds_read2_b32 v[8:9], v7 offset0:16 offset1:17
	ds_read2_b32 v[0:1], v56 offset0:2 offset1:3
	ds_read_b32 v19, v56 offset:16
	v_cmp_lt_u32_e64 s[8:9], 31, v4
	s_waitcnt lgkmcnt(1)
	v_add3_u32 v58, v9, v8, v0
	s_waitcnt lgkmcnt(0)
	v_add3_u32 v19, v58, v1, v19
	v_and_b32_e32 v58, 15, v4
	v_cmp_eq_u32_e32 vcc, 0, v58
	v_mov_b32_dpp v59, v19 row_shr:1 row_mask:0xf bank_mask:0xf
	v_cmp_lt_u32_e64 s[0:1], 1, v58
	v_cndmask_b32_e64 v59, v59, 0, vcc
	v_add_u32_e32 v19, v59, v19
	v_cmp_lt_u32_e64 s[6:7], 3, v58
	v_cmp_lt_u32_e64 s[4:5], 7, v58
	v_mov_b32_dpp v59, v19 row_shr:2 row_mask:0xf bank_mask:0xf
	v_cndmask_b32_e64 v59, 0, v59, s[0:1]
	v_add_u32_e32 v19, v19, v59
	s_nop 1
	v_mov_b32_dpp v59, v19 row_shr:4 row_mask:0xf bank_mask:0xf
	v_cndmask_b32_e64 v59, 0, v59, s[6:7]
	v_add_u32_e32 v19, v19, v59
	s_nop 1
	v_mov_b32_dpp v59, v19 row_shr:8 row_mask:0xf bank_mask:0xf
	v_cndmask_b32_e64 v58, 0, v59, s[4:5]
	v_add_u32_e32 v19, v19, v58
	v_bfe_i32 v59, v4, 4, 1
	s_nop 0
	v_mov_b32_dpp v58, v19 row_bcast:15 row_mask:0xf bank_mask:0xf
	v_and_b32_e32 v58, v59, v58
	v_add_u32_e32 v19, v19, v58
	v_lshrrev_b32_e32 v59, 6, v2
	s_nop 0
	v_mov_b32_dpp v58, v19 row_bcast:31 row_mask:0xf bank_mask:0xf
	v_cndmask_b32_e64 v58, 0, v58, s[8:9]
	v_add_u32_e32 v58, v19, v58
	v_and_b32_e32 v19, 63, v2
	v_cmp_eq_u32_e64 s[8:9], 63, v19
	s_and_saveexec_b64 s[12:13], s[8:9]
	s_cbranch_execz .LBB24_162
; %bb.161:
	v_lshlrev_b32_e32 v19, 2, v59
	ds_write_b32 v19, v58
.LBB24_162:
	s_or_b64 exec, exec, s[12:13]
	v_cmp_gt_u32_e64 s[8:9], 16, v2
	v_lshlrev_b32_e32 v19, 2, v2
	s_waitcnt lgkmcnt(0)
	s_barrier
	s_and_saveexec_b64 s[12:13], s[8:9]
	s_cbranch_execz .LBB24_164
; %bb.163:
	ds_read_b32 v60, v19
	s_waitcnt lgkmcnt(0)
	s_nop 0
	v_mov_b32_dpp v61, v60 row_shr:1 row_mask:0xf bank_mask:0xf
	v_cndmask_b32_e64 v61, v61, 0, vcc
	v_add_u32_e32 v60, v61, v60
	s_nop 1
	v_mov_b32_dpp v61, v60 row_shr:2 row_mask:0xf bank_mask:0xf
	v_cndmask_b32_e64 v61, 0, v61, s[0:1]
	v_add_u32_e32 v60, v60, v61
	s_nop 1
	v_mov_b32_dpp v61, v60 row_shr:4 row_mask:0xf bank_mask:0xf
	v_cndmask_b32_e64 v61, 0, v61, s[6:7]
	;; [unrolled: 4-line block ×3, first 2 shown]
	v_add_u32_e32 v60, v60, v61
	ds_write_b32 v19, v60
.LBB24_164:
	s_or_b64 exec, exec, s[12:13]
	v_cmp_lt_u32_e32 vcc, 63, v2
	v_mov_b32_e32 v60, 0
	s_waitcnt lgkmcnt(0)
	s_barrier
	s_and_saveexec_b64 s[0:1], vcc
	s_cbranch_execz .LBB24_166
; %bb.165:
	v_lshl_add_u32 v59, v59, 2, -4
	ds_read_b32 v60, v59
.LBB24_166:
	s_or_b64 exec, exec, s[0:1]
	v_add_u32_e32 v59, -1, v4
	v_and_b32_e32 v61, 64, v4
	v_cmp_lt_i32_e32 vcc, v59, v61
	s_waitcnt lgkmcnt(0)
	v_add_u32_e32 v58, v60, v58
	s_movk_i32 s4, 0xff
	v_cndmask_b32_e32 v59, v59, v4, vcc
	v_lshlrev_b32_e32 v59, 2, v59
	ds_bpermute_b32 v58, v59, v58
	v_cmp_eq_u32_e32 vcc, 0, v4
	s_movk_i32 s5, 0x100
	v_cmp_lt_u32_e64 s[0:1], s4, v2
	s_waitcnt lgkmcnt(0)
	v_cndmask_b32_e32 v58, v58, v60, vcc
	v_cmp_ne_u32_e32 vcc, 0, v2
	s_nop 1
	v_cndmask_b32_e32 v58, 0, v58, vcc
	v_add_u32_e32 v8, v58, v8
	v_add_u32_e32 v9, v8, v9
	;; [unrolled: 1-line block ×4, first 2 shown]
	ds_write2_b32 v7, v58, v8 offset0:16 offset1:17
	ds_write2_b32 v56, v9, v0 offset0:2 offset1:3
	ds_write_b32 v56, v1 offset:16
	s_waitcnt lgkmcnt(0)
	s_barrier
	ds_read_b32 v9, v12 offset:64
	ds_read_b32 v12, v14 offset:64
	ds_read_b32 v14, v18 offset:64
	ds_read_b32 v18, v24 offset:64
	ds_read_b32 v24, v29 offset:64
	ds_read_b32 v34, v34 offset:64
	ds_read_b32 v39, v39 offset:64
	ds_read_b32 v43, v43 offset:64
	ds_read_b32 v46, v46 offset:64
	ds_read_b32 v49, v49 offset:64
	ds_read_b32 v56, v25 offset:64
	ds_read_b32 v55, v55 offset:64
	v_cmp_gt_u32_e32 vcc, s5, v2
	v_mov_b64_e32 v[0:1], 0
                                        ; implicit-def: $vgpr8
	s_and_saveexec_b64 s[6:7], vcc
	s_cbranch_execz .LBB24_170
; %bb.167:
	v_mul_u32_u24_e32 v0, 17, v2
	v_lshlrev_b32_e32 v7, 2, v0
	ds_read_b32 v0, v7 offset:64
	v_cmp_ne_u32_e64 s[4:5], s4, v2
	v_mov_b32_e32 v1, 0x3000
	s_and_saveexec_b64 s[8:9], s[4:5]
	s_cbranch_execz .LBB24_169
; %bb.168:
	ds_read_b32 v1, v7 offset:132
.LBB24_169:
	s_or_b64 exec, exec, s[8:9]
	s_waitcnt lgkmcnt(0)
	v_sub_u32_e32 v8, v1, v0
	v_mov_b32_e32 v1, 0
.LBB24_170:
	s_or_b64 exec, exec, s[6:7]
	s_waitcnt lgkmcnt(11)
	v_add_u32_e32 v9, v9, v11
	s_waitcnt lgkmcnt(10)
	v_add3_u32 v25, v16, v13, v12
	v_lshlrev_b32_e32 v11, 2, v9
	s_waitcnt lgkmcnt(9)
	v_add3_u32 v29, v22, v17, v14
	s_waitcnt lgkmcnt(0)
	s_barrier
	ds_write_b32 v11, v3 offset:2048
	v_lshlrev_b32_e32 v3, 2, v25
	v_add3_u32 v27, v27, v23, v18
	ds_write_b32 v3, v10 offset:2048
	v_lshlrev_b32_e32 v3, 2, v29
	v_add3_u32 v28, v32, v28, v24
	;; [unrolled: 3-line block ×9, first 2 shown]
	ds_write_b32 v3, v30 offset:2048
	v_lshlrev_b32_e32 v3, 2, v39
	v_mov_b32_e32 v7, v5
	ds_write_b32 v3, v50 offset:2048
	v_lshlrev_b32_e32 v3, 2, v41
	ds_write_b32 v3, v53 offset:2048
	s_waitcnt lgkmcnt(0)
	s_barrier
	s_and_saveexec_b64 s[4:5], s[0:1]
	s_xor_b64 s[0:1], exec, s[4:5]
; %bb.171:
	v_mov_b32_e32 v3, 0
; %bb.172:
	s_andn2_saveexec_b64 s[4:5], s[0:1]
	s_cbranch_execz .LBB24_182
; %bb.173:
	v_lshl_or_b32 v12, s2, 8, v2
	v_mov_b32_e32 v13, 0
	v_lshl_add_u64 v[10:11], v[12:13], 2, s[72:73]
	v_or_b32_e32 v3, 2.0, v8
	s_mov_b64 s[6:7], 0
	s_brev_b32 s15, 1
	s_mov_b32 s16, s2
	v_mov_b32_e32 v16, 0
	global_store_dword v[10:11], v3, off sc1
                                        ; implicit-def: $sgpr0_sgpr1
	s_branch .LBB24_176
.LBB24_174:                             ;   in Loop: Header=BB24_176 Depth=1
	s_or_b64 exec, exec, s[12:13]
.LBB24_175:                             ;   in Loop: Header=BB24_176 Depth=1
	s_or_b64 exec, exec, s[8:9]
	v_and_b32_e32 v12, 0x3fffffff, v12
	v_add_u32_e32 v16, v12, v16
	v_cmp_eq_u32_e64 s[0:1], s15, v3
	s_and_b64 s[8:9], exec, s[0:1]
	s_or_b64 s[6:7], s[8:9], s[6:7]
	s_andn2_b64 exec, exec, s[6:7]
	s_cbranch_execz .LBB24_181
.LBB24_176:                             ; =>This Loop Header: Depth=1
                                        ;     Child Loop BB24_179 Depth 2
	s_or_b64 s[0:1], s[0:1], exec
	s_cmp_eq_u32 s16, 0
	s_cbranch_scc1 .LBB24_180
; %bb.177:                              ;   in Loop: Header=BB24_176 Depth=1
	s_add_i32 s16, s16, -1
	v_lshl_or_b32 v12, s16, 8, v2
	v_lshl_add_u64 v[14:15], v[12:13], 2, s[72:73]
	global_load_dword v12, v[14:15], off sc1
	s_waitcnt vmcnt(0)
	v_and_b32_e32 v3, -2.0, v12
	v_cmp_eq_u32_e64 s[0:1], 0, v3
	s_and_saveexec_b64 s[8:9], s[0:1]
	s_cbranch_execz .LBB24_175
; %bb.178:                              ;   in Loop: Header=BB24_176 Depth=1
	s_mov_b64 s[12:13], 0
.LBB24_179:                             ;   Parent Loop BB24_176 Depth=1
                                        ; =>  This Inner Loop Header: Depth=2
	global_load_dword v12, v[14:15], off sc1
	s_waitcnt vmcnt(0)
	v_and_b32_e32 v3, -2.0, v12
	v_cmp_ne_u32_e64 s[0:1], 0, v3
	s_or_b64 s[12:13], s[0:1], s[12:13]
	s_andn2_b64 exec, exec, s[12:13]
	s_cbranch_execnz .LBB24_179
	s_branch .LBB24_174
.LBB24_180:                             ;   in Loop: Header=BB24_176 Depth=1
                                        ; implicit-def: $sgpr16
	s_and_b64 s[8:9], exec, s[0:1]
	s_or_b64 s[6:7], s[8:9], s[6:7]
	s_andn2_b64 exec, exec, s[6:7]
	s_cbranch_execnz .LBB24_176
.LBB24_181:
	s_or_b64 exec, exec, s[6:7]
	v_add_u32_e32 v3, v16, v8
	v_or_b32_e32 v3, 0x80000000, v3
	global_store_dword v[10:11], v3, off sc1
	v_lshlrev_b32_e32 v14, 3, v2
	global_load_dwordx2 v[10:11], v14, s[64:65]
	v_sub_co_u32_e64 v12, s[0:1], v16, v0
	v_mov_b32_e32 v3, 0
	s_nop 0
	v_subb_co_u32_e64 v13, s[0:1], 0, v1, s[0:1]
	s_waitcnt vmcnt(0)
	v_lshl_add_u64 v[10:11], v[12:13], 0, v[10:11]
	ds_write_b64 v14, v[10:11]
.LBB24_182:
	s_or_b64 exec, exec, s[4:5]
	s_waitcnt lgkmcnt(0)
	s_barrier
	ds_read2st64_b32 v[12:13], v19 offset0:24 offset1:40
	v_lshlrev_b32_e32 v10, 2, v2
	ds_read2st64_b32 v[14:15], v19 offset0:56 offset1:72
	ds_read_b32 v18, v10 offset:2048
	ds_read2st64_b32 v[16:17], v19 offset0:88 offset1:104
	s_waitcnt lgkmcnt(3)
	v_lshrrev_b32_e32 v11, s68, v12
	v_and_b32_e32 v11, s14, v11
	v_lshlrev_b32_e32 v31, 3, v11
	s_waitcnt lgkmcnt(2)
	v_lshrrev_b32_e32 v11, s68, v14
	v_and_b32_e32 v11, s14, v11
	s_waitcnt lgkmcnt(1)
	v_lshrrev_b32_e32 v24, s68, v18
	v_lshlrev_b32_e32 v35, 3, v11
	s_waitcnt lgkmcnt(0)
	v_lshrrev_b32_e32 v11, s68, v16
	v_and_b32_e32 v24, s14, v24
	v_and_b32_e32 v11, s14, v11
	v_lshlrev_b32_e32 v36, 3, v24
	v_lshlrev_b32_e32 v26, 3, v11
	ds_read_b64 v[10:11], v31
	ds_read_b64 v[20:21], v35
	;; [unrolled: 1-line block ×3, first 2 shown]
	v_lshrrev_b32_e32 v24, s68, v13
	ds_read_b64 v[42:43], v36
	v_and_b32_e32 v24, s14, v24
	v_lshlrev_b32_e32 v40, 3, v24
	v_lshrrev_b32_e32 v24, s68, v15
	v_and_b32_e32 v24, s14, v24
	v_lshlrev_b32_e32 v30, 3, v24
	v_lshrrev_b32_e32 v24, s68, v17
	v_and_b32_e32 v24, s14, v24
	s_waitcnt lgkmcnt(0)
	v_lshl_add_u64 v[42:43], v[42:43], 2, s[58:59]
	v_xor_b32_e32 v18, 0x80000000, v18
	v_lshlrev_b32_e32 v52, 3, v24
	ds_read_b64 v[44:45], v40
	ds_read_b64 v[46:47], v30
	;; [unrolled: 1-line block ×3, first 2 shown]
	v_lshl_add_u64 v[42:43], v[2:3], 2, v[42:43]
	global_store_dword v[42:43], v18, off
	v_lshl_add_u64 v[42:43], v[10:11], 2, s[58:59]
	v_or_b32_e32 v10, 0x1000, v19
	v_mov_b32_e32 v11, 0
	v_xor_b32_e32 v12, 0x80000000, v12
	v_lshl_add_u64 v[42:43], v[42:43], 0, v[10:11]
	global_store_dword v[42:43], v12, off
	v_xor_b32_e32 v18, 0x80000000, v13
	s_waitcnt lgkmcnt(2)
	v_lshl_add_u64 v[12:13], v[44:45], 2, s[58:59]
	v_or_b32_e32 v10, 0x2000, v19
	v_lshl_add_u64 v[12:13], v[12:13], 0, v[10:11]
	global_store_dword v[12:13], v18, off
	v_lshl_add_u64 v[12:13], v[20:21], 2, s[58:59]
	v_or_b32_e32 v10, 0x3000, v19
	v_xor_b32_e32 v14, 0x80000000, v14
	v_lshl_add_u64 v[12:13], v[12:13], 0, v[10:11]
	v_or_b32_e32 v10, 0x1000, v2
	global_store_dword v[12:13], v14, off
	v_xor_b32_e32 v18, 0x80000000, v15
	s_waitcnt lgkmcnt(1)
	v_lshl_add_u64 v[12:13], v[46:47], 2, s[58:59]
	v_lshlrev_b32_e32 v14, 2, v10
	v_mov_b32_e32 v15, v11
	v_lshl_add_u64 v[12:13], v[12:13], 0, v[14:15]
	global_store_dword v[12:13], v18, off
	v_or_b32_e32 v12, 0x1400, v2
	v_lshl_add_u64 v[14:15], v[22:23], 2, s[58:59]
	v_lshlrev_b32_e32 v20, 2, v12
	v_mov_b32_e32 v21, v11
	ds_read2st64_b32 v[22:23], v19 offset0:120 offset1:136
	v_xor_b32_e32 v13, 0x80000000, v16
	v_lshl_add_u64 v[14:15], v[14:15], 0, v[20:21]
	global_store_dword v[14:15], v13, off
	v_or_b32_e32 v14, 0x1800, v2
	v_xor_b32_e32 v13, 0x80000000, v17
	s_waitcnt lgkmcnt(1)
	v_lshl_add_u64 v[16:17], v[48:49], 2, s[58:59]
	v_lshlrev_b32_e32 v20, 2, v14
	v_lshl_add_u64 v[16:17], v[16:17], 0, v[20:21]
	ds_read2st64_b32 v[42:43], v19 offset0:152 offset1:168
	global_store_dword v[16:17], v13, off
	s_waitcnt lgkmcnt(1)
	v_lshrrev_b32_e32 v13, s68, v22
	v_and_b32_e32 v13, s14, v13
	v_lshlrev_b32_e32 v53, 3, v13
	v_lshrrev_b32_e32 v13, s68, v23
	v_and_b32_e32 v13, s14, v13
	v_lshlrev_b32_e32 v54, 3, v13
	s_waitcnt lgkmcnt(0)
	v_lshrrev_b32_e32 v13, s68, v42
	ds_read_b64 v[20:21], v53
	v_and_b32_e32 v13, s14, v13
	v_lshlrev_b32_e32 v55, 3, v13
	v_lshrrev_b32_e32 v13, s68, v43
	v_and_b32_e32 v13, s14, v13
	v_or_b32_e32 v16, 0x1c00, v2
	v_lshlrev_b32_e32 v56, 3, v13
	ds_read_b64 v[44:45], v54
	ds_read_b64 v[46:47], v55
	;; [unrolled: 1-line block ×3, first 2 shown]
	s_waitcnt lgkmcnt(3)
	v_lshl_add_u64 v[20:21], v[20:21], 2, s[58:59]
	v_lshlrev_b32_e32 v50, 2, v16
	v_mov_b32_e32 v51, v11
	v_xor_b32_e32 v15, 0x80000000, v22
	v_lshl_add_u64 v[20:21], v[20:21], 0, v[50:51]
	v_or_b32_e32 v18, 0x2000, v2
	global_store_dword v[20:21], v15, off
	v_xor_b32_e32 v13, 0x80000000, v23
	s_waitcnt lgkmcnt(2)
	v_lshl_add_u64 v[20:21], v[44:45], 2, s[58:59]
	v_lshlrev_b32_e32 v22, 2, v18
	v_mov_b32_e32 v23, v11
	v_lshl_add_u64 v[20:21], v[20:21], 0, v[22:23]
	global_store_dword v[20:21], v13, off
	v_or_b32_e32 v20, 0x2400, v2
	s_waitcnt lgkmcnt(1)
	v_lshl_add_u64 v[22:23], v[46:47], 2, s[58:59]
	v_lshlrev_b32_e32 v44, 2, v20
	v_mov_b32_e32 v45, v11
	v_xor_b32_e32 v13, 0x80000000, v42
	v_lshl_add_u64 v[22:23], v[22:23], 0, v[44:45]
	global_store_dword v[22:23], v13, off
	ds_read_b32 v13, v19 offset:47104
	v_xor_b32_e32 v15, 0x80000000, v43
	s_waitcnt lgkmcnt(1)
	v_lshl_add_u64 v[42:43], v[48:49], 2, s[58:59]
	v_or_b32_e32 v22, 0x2800, v2
	v_lshlrev_b32_e32 v44, 2, v22
	s_waitcnt lgkmcnt(0)
	v_lshrrev_b32_e32 v17, s68, v13
	v_and_b32_e32 v17, s14, v17
	v_lshlrev_b32_e32 v48, 3, v17
	ds_read_b64 v[46:47], v48
	v_lshl_add_u64 v[42:43], v[42:43], 0, v[44:45]
	v_or_b32_e32 v24, 0x2c00, v2
	s_add_u32 s0, s60, s54
	global_store_dword v[42:43], v15, off
	s_waitcnt lgkmcnt(0)
	v_lshl_add_u64 v[42:43], v[46:47], 2, s[58:59]
	v_lshlrev_b32_e32 v44, 2, v24
	s_addc_u32 s1, s61, 0
	v_xor_b32_e32 v13, 0x80000000, v13
	v_lshl_add_u64 v[42:43], v[42:43], 0, v[44:45]
	v_lshl_add_u64 v[4:5], s[0:1], 0, v[4:5]
	global_store_dword v[42:43], v13, off
	v_lshl_add_u64 v[4:5], v[4:5], 0, v[6:7]
	global_load_ubyte v6, v[4:5], off
	global_load_ubyte v7, v[4:5], off offset:64
	global_load_ubyte v42, v[4:5], off offset:128
	;; [unrolled: 1-line block ×11, first 2 shown]
	s_barrier
	v_mov_b32_e32 v13, v11
	v_mov_b32_e32 v15, v11
	;; [unrolled: 1-line block ×6, first 2 shown]
	s_add_i32 s3, s3, -1
	s_cmp_eq_u32 s2, s3
	s_cselect_b64 s[0:1], -1, 0
	s_and_b64 s[2:3], vcc, s[0:1]
	s_waitcnt vmcnt(11)
	ds_write_b8 v9, v6 offset:2048
	s_waitcnt vmcnt(10)
	ds_write_b8 v25, v7 offset:2048
	;; [unrolled: 2-line block ×12, first 2 shown]
	s_waitcnt lgkmcnt(0)
	s_barrier
	ds_read_b64 v[4:5], v36
	ds_read_b64 v[6:7], v31
	;; [unrolled: 1-line block ×4, first 2 shown]
	ds_read_u8 v9, v2 offset:2048
	ds_read_u8 v27, v2 offset:3072
	;; [unrolled: 1-line block ×8, first 2 shown]
	v_mov_b32_e32 v25, v11
	s_waitcnt lgkmcnt(11)
	v_lshl_add_u64 v[4:5], s[62:63], 0, v[4:5]
	v_lshl_add_u64 v[4:5], v[4:5], 0, v[2:3]
	s_waitcnt lgkmcnt(7)
	global_store_byte v[4:5], v9, off
	v_lshl_add_u64 v[4:5], s[62:63], 0, v[6:7]
	v_lshl_add_u64 v[4:5], v[4:5], 0, v[2:3]
	s_waitcnt lgkmcnt(6)
	global_store_byte v[4:5], v27, off offset:1024
	v_lshl_add_u64 v[4:5], s[62:63], 0, v[28:29]
	v_lshl_add_u64 v[4:5], v[4:5], 0, v[2:3]
	s_waitcnt lgkmcnt(5)
	global_store_byte v[4:5], v31, off offset:2048
	v_lshl_add_u64 v[4:5], s[62:63], 0, v[32:33]
	v_lshl_add_u64 v[4:5], v[4:5], 0, v[2:3]
	ds_read_b64 v[6:7], v30
	s_waitcnt lgkmcnt(5)
	global_store_byte v[4:5], v34, off offset:3072
	ds_read_b64 v[4:5], v26
	ds_read_b64 v[26:27], v52
	;; [unrolled: 1-line block ×3, first 2 shown]
	s_waitcnt lgkmcnt(3)
	v_lshl_add_u64 v[6:7], s[62:63], 0, v[6:7]
	s_waitcnt lgkmcnt(2)
	v_lshl_add_u64 v[4:5], s[62:63], 0, v[4:5]
	v_lshl_add_u64 v[6:7], v[6:7], 0, v[10:11]
	v_lshl_add_u64 v[4:5], v[4:5], 0, v[12:13]
	global_store_byte v[6:7], v35, off
	global_store_byte v[4:5], v36, off
	s_waitcnt lgkmcnt(1)
	v_lshl_add_u64 v[4:5], s[62:63], 0, v[26:27]
	v_lshl_add_u64 v[4:5], v[4:5], 0, v[14:15]
	global_store_byte v[4:5], v37, off
	s_waitcnt lgkmcnt(0)
	v_lshl_add_u64 v[4:5], s[62:63], 0, v[28:29]
	v_lshl_add_u64 v[4:5], v[4:5], 0, v[16:17]
	ds_read_b64 v[6:7], v54
	global_store_byte v[4:5], v38, off
	ds_read_b64 v[4:5], v55
	ds_read_b64 v[12:13], v56
	;; [unrolled: 1-line block ×3, first 2 shown]
	ds_read_u8 v9, v2 offset:10240
	ds_read_u8 v10, v2 offset:11264
	;; [unrolled: 1-line block ×4, first 2 shown]
	s_waitcnt lgkmcnt(7)
	v_lshl_add_u64 v[6:7], s[62:63], 0, v[6:7]
	s_waitcnt lgkmcnt(6)
	v_lshl_add_u64 v[4:5], s[62:63], 0, v[4:5]
	v_lshl_add_u64 v[6:7], v[6:7], 0, v[18:19]
	;; [unrolled: 1-line block ×3, first 2 shown]
	s_waitcnt lgkmcnt(3)
	global_store_byte v[6:7], v9, off
	s_waitcnt lgkmcnt(2)
	global_store_byte v[4:5], v10, off
	v_lshl_add_u64 v[4:5], s[62:63], 0, v[12:13]
	v_lshl_add_u64 v[4:5], v[4:5], 0, v[22:23]
	s_waitcnt lgkmcnt(1)
	global_store_byte v[4:5], v16, off
	v_lshl_add_u64 v[4:5], s[62:63], 0, v[14:15]
	v_lshl_add_u64 v[4:5], v[4:5], 0, v[24:25]
	s_waitcnt lgkmcnt(0)
	global_store_byte v[4:5], v17, off
                                        ; implicit-def: $vgpr4_vgpr5
	s_and_saveexec_b64 s[0:1], s[2:3]
; %bb.183:
	v_mov_b32_e32 v9, v11
	v_lshl_add_u64 v[4:5], v[0:1], 0, v[8:9]
	s_or_b64 s[10:11], s[10:11], exec
; %bb.184:
	s_or_b64 exec, exec, s[0:1]
.LBB24_185:
	s_and_saveexec_b64 s[0:1], s[10:11]
	s_cbranch_execnz .LBB24_187
; %bb.186:
	s_endpgm
.LBB24_187:
	v_lshlrev_b32_e32 v0, 3, v2
	ds_read_b64 v[0:1], v0
	v_mov_b32_e32 v6, s66
	v_mov_b32_e32 v7, s67
	v_lshl_add_u64 v[2:3], v[2:3], 3, v[6:7]
	s_waitcnt lgkmcnt(0)
	v_lshl_add_u64 v[0:1], v[0:1], 0, v[4:5]
	global_store_dwordx2 v[2:3], v[0:1], off
	s_endpgm
.LBB24_188:
	global_load_ubyte v3, v[4:5], off
	s_or_b64 exec, exec, s[70:71]
                                        ; implicit-def: $vgpr6
	s_and_saveexec_b64 s[70:71], s[52:53]
	s_cbranch_execz .LBB24_95
.LBB24_189:
	global_load_ubyte v6, v[4:5], off offset:64
	s_or_b64 exec, exec, s[70:71]
                                        ; implicit-def: $vgpr7
	s_and_saveexec_b64 s[52:53], s[4:5]
	s_cbranch_execz .LBB24_96
.LBB24_190:
	global_load_ubyte v7, v[4:5], off offset:128
	s_or_b64 exec, exec, s[52:53]
                                        ; implicit-def: $vgpr13
	s_and_saveexec_b64 s[4:5], s[6:7]
	s_cbranch_execz .LBB24_97
.LBB24_191:
	global_load_ubyte v13, v[4:5], off offset:192
	s_or_b64 exec, exec, s[4:5]
                                        ; implicit-def: $vgpr15
	s_and_saveexec_b64 s[4:5], s[8:9]
	s_cbranch_execz .LBB24_98
.LBB24_192:
	global_load_ubyte v15, v[4:5], off offset:256
	s_or_b64 exec, exec, s[4:5]
                                        ; implicit-def: $vgpr17
	s_and_saveexec_b64 s[4:5], s[10:11]
	s_cbranch_execz .LBB24_99
.LBB24_193:
	global_load_ubyte v17, v[4:5], off offset:320
	s_or_b64 exec, exec, s[4:5]
                                        ; implicit-def: $vgpr19
	s_and_saveexec_b64 s[4:5], s[12:13]
	s_cbranch_execz .LBB24_100
.LBB24_194:
	global_load_ubyte v19, v[4:5], off offset:384
	s_or_b64 exec, exec, s[4:5]
                                        ; implicit-def: $vgpr23
	s_and_saveexec_b64 s[4:5], s[14:15]
	s_cbranch_execz .LBB24_101
.LBB24_195:
	global_load_ubyte v23, v[4:5], off offset:448
	s_or_b64 exec, exec, s[4:5]
                                        ; implicit-def: $vgpr38
	s_and_saveexec_b64 s[4:5], s[16:17]
	s_cbranch_execz .LBB24_102
.LBB24_196:
	global_load_ubyte v38, v[4:5], off offset:512
	s_or_b64 exec, exec, s[4:5]
                                        ; implicit-def: $vgpr41
	s_and_saveexec_b64 s[4:5], s[18:19]
	s_cbranch_execz .LBB24_103
.LBB24_197:
	global_load_ubyte v41, v[4:5], off offset:576
	s_or_b64 exec, exec, s[4:5]
                                        ; implicit-def: $vgpr44
	s_and_saveexec_b64 s[4:5], s[20:21]
	s_cbranch_execz .LBB24_104
.LBB24_198:
	global_load_ubyte v44, v[4:5], off offset:640
	s_or_b64 exec, exec, s[4:5]
                                        ; implicit-def: $vgpr48
	s_and_saveexec_b64 s[4:5], s[22:23]
	s_cbranch_execz .LBB24_105
.LBB24_199:
	global_load_ubyte v48, v[4:5], off offset:704
	s_or_b64 exec, exec, s[4:5]
                                        ; implicit-def: $vgpr49
	s_and_saveexec_b64 s[4:5], s[26:27]
	s_cbranch_execz .LBB24_106
.LBB24_200:
	ds_read_b32 v4, v12 offset:2048
	s_waitcnt lgkmcnt(0)
	v_lshrrev_b32_e32 v4, s68, v4
	v_and_b32_e32 v49, s33, v4
	s_or_b64 exec, exec, s[4:5]
                                        ; implicit-def: $vgpr47
	s_and_saveexec_b64 s[4:5], s[28:29]
	s_cbranch_execz .LBB24_107
.LBB24_201:
	ds_read_b32 v4, v12 offset:6144
	s_waitcnt lgkmcnt(0)
	v_lshrrev_b32_e32 v4, s68, v4
	v_and_b32_e32 v47, s33, v4
	s_or_b64 exec, exec, s[4:5]
                                        ; implicit-def: $vgpr46
	s_and_saveexec_b64 s[4:5], s[30:31]
	s_cbranch_execz .LBB24_108
.LBB24_202:
	ds_read_b32 v4, v12 offset:10240
	s_waitcnt lgkmcnt(0)
	v_lshrrev_b32_e32 v4, s68, v4
	v_and_b32_e32 v46, s33, v4
	s_or_b64 exec, exec, s[4:5]
                                        ; implicit-def: $vgpr45
	s_and_saveexec_b64 s[4:5], s[34:35]
	s_cbranch_execz .LBB24_109
.LBB24_203:
	ds_read_b32 v4, v12 offset:14336
	s_waitcnt lgkmcnt(0)
	v_lshrrev_b32_e32 v4, s68, v4
	v_and_b32_e32 v45, s33, v4
	s_or_b64 exec, exec, s[4:5]
                                        ; implicit-def: $vgpr43
	s_and_saveexec_b64 s[4:5], s[36:37]
	s_cbranch_execz .LBB24_110
.LBB24_204:
	ds_read_b32 v4, v12 offset:18432
	s_waitcnt lgkmcnt(0)
	v_lshrrev_b32_e32 v4, s68, v4
	v_and_b32_e32 v43, s33, v4
	s_or_b64 exec, exec, s[4:5]
                                        ; implicit-def: $vgpr42
	s_and_saveexec_b64 s[4:5], s[38:39]
	s_cbranch_execz .LBB24_111
.LBB24_205:
	ds_read_b32 v4, v12 offset:22528
	s_waitcnt lgkmcnt(0)
	v_lshrrev_b32_e32 v4, s68, v4
	v_and_b32_e32 v42, s33, v4
	s_or_b64 exec, exec, s[4:5]
                                        ; implicit-def: $vgpr40
	s_and_saveexec_b64 s[4:5], s[40:41]
	s_cbranch_execz .LBB24_112
.LBB24_206:
	ds_read_b32 v4, v12 offset:26624
	s_waitcnt lgkmcnt(0)
	v_lshrrev_b32_e32 v4, s68, v4
	v_and_b32_e32 v40, s33, v4
	s_or_b64 exec, exec, s[4:5]
                                        ; implicit-def: $vgpr39
	s_and_saveexec_b64 s[4:5], s[42:43]
	s_cbranch_execz .LBB24_113
.LBB24_207:
	ds_read_b32 v4, v12 offset:30720
	s_waitcnt lgkmcnt(0)
	v_lshrrev_b32_e32 v4, s68, v4
	v_and_b32_e32 v39, s33, v4
	s_or_b64 exec, exec, s[4:5]
                                        ; implicit-def: $vgpr34
	s_and_saveexec_b64 s[4:5], s[44:45]
	s_cbranch_execnz .LBB24_114
	s_branch .LBB24_115
.LBB24_208:
	ds_read_b32 v5, v12 offset:38912
	s_waitcnt lgkmcnt(0)
	v_lshrrev_b32_e32 v5, s68, v5
	v_and_b32_e32 v29, s33, v5
	s_or_b64 exec, exec, s[4:5]
	s_and_saveexec_b64 s[4:5], s[48:49]
	s_cbranch_execz .LBB24_117
.LBB24_209:
	ds_read_b32 v4, v12 offset:43008
	s_waitcnt lgkmcnt(0)
	v_lshrrev_b32_e32 v4, s68, v4
	v_and_b32_e32 v4, s33, v4
	s_or_b64 exec, exec, s[4:5]
	v_mov_b32_e32 v5, 0
	s_and_saveexec_b64 s[4:5], s[50:51]
	s_cbranch_execnz .LBB24_118
	s_branch .LBB24_119
.LBB24_210:
	v_lshlrev_b32_e32 v3, 3, v49
	ds_read_b64 v[6:7], v3
	ds_read_u8 v9, v2 offset:2048
	v_mov_b32_e32 v3, 0
	s_waitcnt lgkmcnt(1)
	v_lshl_add_u64 v[6:7], s[62:63], 0, v[6:7]
	v_lshl_add_u64 v[6:7], v[6:7], 0, v[2:3]
	s_waitcnt lgkmcnt(0)
	global_store_byte v[6:7], v9, off
	s_or_b64 exec, exec, s[4:5]
	s_and_saveexec_b64 s[4:5], s[28:29]
	s_cbranch_execz .LBB24_121
.LBB24_211:
	v_lshlrev_b32_e32 v3, 3, v47
	ds_read_b64 v[6:7], v3
	ds_read_u8 v9, v2 offset:3072
	v_mov_b32_e32 v3, 0
	s_waitcnt lgkmcnt(1)
	v_lshl_add_u64 v[6:7], s[62:63], 0, v[6:7]
	v_lshl_add_u64 v[6:7], v[6:7], 0, v[2:3]
	s_waitcnt lgkmcnt(0)
	global_store_byte v[6:7], v9, off offset:1024
	s_or_b64 exec, exec, s[4:5]
	s_and_saveexec_b64 s[4:5], s[30:31]
	s_cbranch_execz .LBB24_122
.LBB24_212:
	v_lshlrev_b32_e32 v3, 3, v46
	ds_read_b64 v[6:7], v3
	ds_read_u8 v9, v2 offset:4096
	v_mov_b32_e32 v3, 0
	s_waitcnt lgkmcnt(1)
	v_lshl_add_u64 v[6:7], s[62:63], 0, v[6:7]
	v_lshl_add_u64 v[6:7], v[6:7], 0, v[2:3]
	s_waitcnt lgkmcnt(0)
	global_store_byte v[6:7], v9, off offset:2048
	s_or_b64 exec, exec, s[4:5]
	s_and_saveexec_b64 s[4:5], s[34:35]
	s_cbranch_execz .LBB24_123
.LBB24_213:
	v_lshlrev_b32_e32 v3, 3, v45
	ds_read_b64 v[6:7], v3
	ds_read_u8 v9, v2 offset:5120
	v_mov_b32_e32 v3, 0
	s_waitcnt lgkmcnt(1)
	v_lshl_add_u64 v[6:7], s[62:63], 0, v[6:7]
	v_lshl_add_u64 v[6:7], v[6:7], 0, v[2:3]
	s_waitcnt lgkmcnt(0)
	global_store_byte v[6:7], v9, off offset:3072
	s_or_b64 exec, exec, s[4:5]
	s_and_saveexec_b64 s[4:5], s[36:37]
	s_cbranch_execz .LBB24_124
.LBB24_214:
	v_lshlrev_b32_e32 v3, 3, v43
	ds_read_b64 v[6:7], v3
	ds_read_u8 v3, v2 offset:6144
	v_mov_b32_e32 v15, 0
	s_waitcnt lgkmcnt(1)
	v_lshl_add_u64 v[6:7], s[62:63], 0, v[6:7]
	v_lshl_add_u64 v[6:7], v[6:7], 0, v[14:15]
	s_waitcnt lgkmcnt(0)
	global_store_byte v[6:7], v3, off
	s_or_b64 exec, exec, s[4:5]
	s_and_saveexec_b64 s[4:5], s[38:39]
	s_cbranch_execz .LBB24_125
.LBB24_215:
	v_lshlrev_b32_e32 v3, 3, v42
	ds_read_b64 v[6:7], v3
	ds_read_u8 v3, v2 offset:7168
	v_mov_b32_e32 v17, 0
	s_waitcnt lgkmcnt(1)
	v_lshl_add_u64 v[6:7], s[62:63], 0, v[6:7]
	v_lshl_add_u64 v[6:7], v[6:7], 0, v[16:17]
	s_waitcnt lgkmcnt(0)
	global_store_byte v[6:7], v3, off
	s_or_b64 exec, exec, s[4:5]
	s_and_saveexec_b64 s[4:5], s[40:41]
	s_cbranch_execz .LBB24_126
.LBB24_216:
	v_lshlrev_b32_e32 v3, 3, v40
	ds_read_b64 v[6:7], v3
	ds_read_u8 v3, v2 offset:8192
	v_mov_b32_e32 v19, 0
	s_waitcnt lgkmcnt(1)
	v_lshl_add_u64 v[6:7], s[62:63], 0, v[6:7]
	v_lshl_add_u64 v[6:7], v[6:7], 0, v[18:19]
	s_waitcnt lgkmcnt(0)
	global_store_byte v[6:7], v3, off
	s_or_b64 exec, exec, s[4:5]
	s_and_saveexec_b64 s[4:5], s[42:43]
	s_cbranch_execz .LBB24_127
.LBB24_217:
	v_lshlrev_b32_e32 v3, 3, v39
	ds_read_b64 v[6:7], v3
	ds_read_u8 v3, v2 offset:9216
	v_mov_b32_e32 v21, 0
	s_waitcnt lgkmcnt(1)
	v_lshl_add_u64 v[6:7], s[62:63], 0, v[6:7]
	v_lshl_add_u64 v[6:7], v[6:7], 0, v[20:21]
	s_waitcnt lgkmcnt(0)
	global_store_byte v[6:7], v3, off
	s_or_b64 exec, exec, s[4:5]
	s_and_saveexec_b64 s[4:5], s[44:45]
	s_cbranch_execz .LBB24_128
.LBB24_218:
	v_lshlrev_b32_e32 v3, 3, v34
	ds_read_b64 v[6:7], v3
	ds_read_u8 v3, v2 offset:10240
	v_mov_b32_e32 v23, 0
	s_waitcnt lgkmcnt(1)
	v_lshl_add_u64 v[6:7], s[62:63], 0, v[6:7]
	v_lshl_add_u64 v[6:7], v[6:7], 0, v[22:23]
	s_waitcnt lgkmcnt(0)
	global_store_byte v[6:7], v3, off
	s_or_b64 exec, exec, s[4:5]
	s_and_saveexec_b64 s[4:5], s[46:47]
	s_cbranch_execz .LBB24_129
.LBB24_219:
	v_lshlrev_b32_e32 v3, 3, v29
	ds_read_b64 v[6:7], v3
	ds_read_u8 v3, v2 offset:11264
	v_mov_b32_e32 v25, 0
	s_waitcnt lgkmcnt(1)
	v_lshl_add_u64 v[6:7], s[62:63], 0, v[6:7]
	v_lshl_add_u64 v[6:7], v[6:7], 0, v[24:25]
	s_waitcnt lgkmcnt(0)
	global_store_byte v[6:7], v3, off
	s_or_b64 exec, exec, s[4:5]
	s_and_saveexec_b64 s[4:5], s[48:49]
	s_cbranch_execz .LBB24_130
.LBB24_220:
	v_lshlrev_b32_e32 v3, 3, v4
	ds_read_b64 v[6:7], v3
	ds_read_u8 v3, v2 offset:12288
	v_mov_b32_e32 v27, 0
	s_waitcnt lgkmcnt(1)
	v_lshl_add_u64 v[6:7], s[62:63], 0, v[6:7]
	v_lshl_add_u64 v[6:7], v[6:7], 0, v[26:27]
	s_waitcnt lgkmcnt(0)
	global_store_byte v[6:7], v3, off
	s_or_b64 exec, exec, s[4:5]
	s_and_saveexec_b64 s[4:5], s[50:51]
	s_cbranch_execnz .LBB24_131
	s_branch .LBB24_132
	.section	.rodata,"a",@progbits
	.p2align	6, 0x0
	.amdhsa_kernel _ZN7rocprim17ROCPRIM_304000_NS6detail25onesweep_iteration_kernelINS1_34wrapped_radix_sort_onesweep_configINS0_14default_configEiN2at4cuda3cub6detail10OpaqueTypeILi1EEEEELb0EPKiPiPKSA_PSA_mNS0_19identity_decomposerEEEvT1_T2_T3_T4_jPT5_SO_PNS1_23onesweep_lookback_stateET6_jjj
		.amdhsa_group_segment_fixed_size 51200
		.amdhsa_private_segment_fixed_size 0
		.amdhsa_kernarg_size 336
		.amdhsa_user_sgpr_count 2
		.amdhsa_user_sgpr_dispatch_ptr 0
		.amdhsa_user_sgpr_queue_ptr 0
		.amdhsa_user_sgpr_kernarg_segment_ptr 1
		.amdhsa_user_sgpr_dispatch_id 0
		.amdhsa_user_sgpr_kernarg_preload_length 0
		.amdhsa_user_sgpr_kernarg_preload_offset 0
		.amdhsa_user_sgpr_private_segment_size 0
		.amdhsa_uses_dynamic_stack 0
		.amdhsa_enable_private_segment 0
		.amdhsa_system_sgpr_workgroup_id_x 1
		.amdhsa_system_sgpr_workgroup_id_y 0
		.amdhsa_system_sgpr_workgroup_id_z 0
		.amdhsa_system_sgpr_workgroup_info 0
		.amdhsa_system_vgpr_workitem_id 2
		.amdhsa_next_free_vgpr 64
		.amdhsa_next_free_sgpr 74
		.amdhsa_accum_offset 64
		.amdhsa_reserve_vcc 1
		.amdhsa_float_round_mode_32 0
		.amdhsa_float_round_mode_16_64 0
		.amdhsa_float_denorm_mode_32 3
		.amdhsa_float_denorm_mode_16_64 3
		.amdhsa_dx10_clamp 1
		.amdhsa_ieee_mode 1
		.amdhsa_fp16_overflow 0
		.amdhsa_tg_split 0
		.amdhsa_exception_fp_ieee_invalid_op 0
		.amdhsa_exception_fp_denorm_src 0
		.amdhsa_exception_fp_ieee_div_zero 0
		.amdhsa_exception_fp_ieee_overflow 0
		.amdhsa_exception_fp_ieee_underflow 0
		.amdhsa_exception_fp_ieee_inexact 0
		.amdhsa_exception_int_div_zero 0
	.end_amdhsa_kernel
	.section	.text._ZN7rocprim17ROCPRIM_304000_NS6detail25onesweep_iteration_kernelINS1_34wrapped_radix_sort_onesweep_configINS0_14default_configEiN2at4cuda3cub6detail10OpaqueTypeILi1EEEEELb0EPKiPiPKSA_PSA_mNS0_19identity_decomposerEEEvT1_T2_T3_T4_jPT5_SO_PNS1_23onesweep_lookback_stateET6_jjj,"axG",@progbits,_ZN7rocprim17ROCPRIM_304000_NS6detail25onesweep_iteration_kernelINS1_34wrapped_radix_sort_onesweep_configINS0_14default_configEiN2at4cuda3cub6detail10OpaqueTypeILi1EEEEELb0EPKiPiPKSA_PSA_mNS0_19identity_decomposerEEEvT1_T2_T3_T4_jPT5_SO_PNS1_23onesweep_lookback_stateET6_jjj,comdat
.Lfunc_end24:
	.size	_ZN7rocprim17ROCPRIM_304000_NS6detail25onesweep_iteration_kernelINS1_34wrapped_radix_sort_onesweep_configINS0_14default_configEiN2at4cuda3cub6detail10OpaqueTypeILi1EEEEELb0EPKiPiPKSA_PSA_mNS0_19identity_decomposerEEEvT1_T2_T3_T4_jPT5_SO_PNS1_23onesweep_lookback_stateET6_jjj, .Lfunc_end24-_ZN7rocprim17ROCPRIM_304000_NS6detail25onesweep_iteration_kernelINS1_34wrapped_radix_sort_onesweep_configINS0_14default_configEiN2at4cuda3cub6detail10OpaqueTypeILi1EEEEELb0EPKiPiPKSA_PSA_mNS0_19identity_decomposerEEEvT1_T2_T3_T4_jPT5_SO_PNS1_23onesweep_lookback_stateET6_jjj
                                        ; -- End function
	.section	.AMDGPU.csdata,"",@progbits
; Kernel info:
; codeLenInByte = 19240
; NumSgprs: 80
; NumVgprs: 64
; NumAgprs: 0
; TotalNumVgprs: 64
; ScratchSize: 0
; MemoryBound: 0
; FloatMode: 240
; IeeeMode: 1
; LDSByteSize: 51200 bytes/workgroup (compile time only)
; SGPRBlocks: 9
; VGPRBlocks: 7
; NumSGPRsForWavesPerEU: 80
; NumVGPRsForWavesPerEU: 64
; AccumOffset: 64
; Occupancy: 4
; WaveLimiterHint : 1
; COMPUTE_PGM_RSRC2:SCRATCH_EN: 0
; COMPUTE_PGM_RSRC2:USER_SGPR: 2
; COMPUTE_PGM_RSRC2:TRAP_HANDLER: 0
; COMPUTE_PGM_RSRC2:TGID_X_EN: 1
; COMPUTE_PGM_RSRC2:TGID_Y_EN: 0
; COMPUTE_PGM_RSRC2:TGID_Z_EN: 0
; COMPUTE_PGM_RSRC2:TIDIG_COMP_CNT: 2
; COMPUTE_PGM_RSRC3_GFX90A:ACCUM_OFFSET: 15
; COMPUTE_PGM_RSRC3_GFX90A:TG_SPLIT: 0
	.section	.text._ZN7rocprim17ROCPRIM_304000_NS6detail25onesweep_iteration_kernelINS1_34wrapped_radix_sort_onesweep_configINS0_14default_configEiN2at4cuda3cub6detail10OpaqueTypeILi1EEEEELb0EPiSC_PSA_SD_mNS0_19identity_decomposerEEEvT1_T2_T3_T4_jPT5_SK_PNS1_23onesweep_lookback_stateET6_jjj,"axG",@progbits,_ZN7rocprim17ROCPRIM_304000_NS6detail25onesweep_iteration_kernelINS1_34wrapped_radix_sort_onesweep_configINS0_14default_configEiN2at4cuda3cub6detail10OpaqueTypeILi1EEEEELb0EPiSC_PSA_SD_mNS0_19identity_decomposerEEEvT1_T2_T3_T4_jPT5_SK_PNS1_23onesweep_lookback_stateET6_jjj,comdat
	.protected	_ZN7rocprim17ROCPRIM_304000_NS6detail25onesweep_iteration_kernelINS1_34wrapped_radix_sort_onesweep_configINS0_14default_configEiN2at4cuda3cub6detail10OpaqueTypeILi1EEEEELb0EPiSC_PSA_SD_mNS0_19identity_decomposerEEEvT1_T2_T3_T4_jPT5_SK_PNS1_23onesweep_lookback_stateET6_jjj ; -- Begin function _ZN7rocprim17ROCPRIM_304000_NS6detail25onesweep_iteration_kernelINS1_34wrapped_radix_sort_onesweep_configINS0_14default_configEiN2at4cuda3cub6detail10OpaqueTypeILi1EEEEELb0EPiSC_PSA_SD_mNS0_19identity_decomposerEEEvT1_T2_T3_T4_jPT5_SK_PNS1_23onesweep_lookback_stateET6_jjj
	.globl	_ZN7rocprim17ROCPRIM_304000_NS6detail25onesweep_iteration_kernelINS1_34wrapped_radix_sort_onesweep_configINS0_14default_configEiN2at4cuda3cub6detail10OpaqueTypeILi1EEEEELb0EPiSC_PSA_SD_mNS0_19identity_decomposerEEEvT1_T2_T3_T4_jPT5_SK_PNS1_23onesweep_lookback_stateET6_jjj
	.p2align	8
	.type	_ZN7rocprim17ROCPRIM_304000_NS6detail25onesweep_iteration_kernelINS1_34wrapped_radix_sort_onesweep_configINS0_14default_configEiN2at4cuda3cub6detail10OpaqueTypeILi1EEEEELb0EPiSC_PSA_SD_mNS0_19identity_decomposerEEEvT1_T2_T3_T4_jPT5_SK_PNS1_23onesweep_lookback_stateET6_jjj,@function
_ZN7rocprim17ROCPRIM_304000_NS6detail25onesweep_iteration_kernelINS1_34wrapped_radix_sort_onesweep_configINS0_14default_configEiN2at4cuda3cub6detail10OpaqueTypeILi1EEEEELb0EPiSC_PSA_SD_mNS0_19identity_decomposerEEEvT1_T2_T3_T4_jPT5_SK_PNS1_23onesweep_lookback_stateET6_jjj: ; @_ZN7rocprim17ROCPRIM_304000_NS6detail25onesweep_iteration_kernelINS1_34wrapped_radix_sort_onesweep_configINS0_14default_configEiN2at4cuda3cub6detail10OpaqueTypeILi1EEEEELb0EPiSC_PSA_SD_mNS0_19identity_decomposerEEEvT1_T2_T3_T4_jPT5_SK_PNS1_23onesweep_lookback_stateET6_jjj
; %bb.0:
	s_load_dwordx4 s[68:71], s[0:1], 0x44
	s_load_dwordx8 s[56:63], s[0:1], 0x0
	s_load_dwordx4 s[64:67], s[0:1], 0x28
	s_load_dwordx2 s[72:73], s[0:1], 0x38
	s_mul_i32 s54, s2, 0x3000
	s_waitcnt lgkmcnt(0)
	s_cmp_ge_u32 s2, s70
	v_mbcnt_lo_u32_b32 v1, -1, 0
	s_cbranch_scc0 .LBB25_135
; %bb.1:
	s_load_dword s3, s[0:1], 0x20
	s_mul_i32 s6, s70, 0xffffd000
	s_mov_b32 s55, 0
	v_and_b32_e32 v2, 0x3ff, v0
	s_lshl_b64 s[4:5], s[54:55], 2
	s_waitcnt lgkmcnt(0)
	s_add_i32 s55, s6, s3
	s_add_u32 s4, s56, s4
	v_mbcnt_hi_u32_b32 v4, -1, v1
	v_and_b32_e32 v3, 0x3c0, v2
	v_mov_b32_e32 v5, 0
	s_addc_u32 s5, s57, s5
	v_mul_u32_u24_e32 v6, 12, v3
	v_lshlrev_b32_e32 v8, 2, v4
	v_mov_b32_e32 v9, v5
	v_lshl_add_u64 v[8:9], s[4:5], 0, v[8:9]
	v_lshlrev_b32_e32 v10, 2, v6
	v_mov_b32_e32 v11, v5
	v_or_b32_e32 v7, v4, v6
	v_lshl_add_u64 v[8:9], v[8:9], 0, v[10:11]
	v_cmp_gt_u32_e32 vcc, s55, v7
	v_bfrev_b32_e32 v13, -2
	v_bfrev_b32_e32 v3, -2
	s_and_saveexec_b64 s[4:5], vcc
	s_cbranch_execz .LBB25_3
; %bb.2:
	global_load_dword v3, v[8:9], off
.LBB25_3:
	s_or_b64 exec, exec, s[4:5]
	v_add_u32_e32 v10, 64, v7
	v_cmp_gt_u32_e64 s[52:53], s55, v10
	s_and_saveexec_b64 s[4:5], s[52:53]
	s_cbranch_execz .LBB25_5
; %bb.4:
	global_load_dword v13, v[8:9], off offset:256
.LBB25_5:
	s_or_b64 exec, exec, s[4:5]
	v_add_u32_e32 v10, 0x80, v7
	v_cmp_gt_u32_e64 s[4:5], s55, v10
	v_bfrev_b32_e32 v23, -2
	v_bfrev_b32_e32 v18, -2
	s_and_saveexec_b64 s[6:7], s[4:5]
	s_cbranch_execz .LBB25_7
; %bb.6:
	global_load_dword v18, v[8:9], off offset:512
.LBB25_7:
	s_or_b64 exec, exec, s[6:7]
	v_add_u32_e32 v10, 0xc0, v7
	v_cmp_gt_u32_e64 s[6:7], s55, v10
	s_and_saveexec_b64 s[8:9], s[6:7]
	s_cbranch_execz .LBB25_9
; %bb.8:
	global_load_dword v23, v[8:9], off offset:768
.LBB25_9:
	s_or_b64 exec, exec, s[8:9]
	v_add_u32_e32 v10, 0x100, v7
	v_cmp_gt_u32_e64 s[8:9], s55, v10
	v_bfrev_b32_e32 v34, -2
	v_bfrev_b32_e32 v29, -2
	s_and_saveexec_b64 s[10:11], s[8:9]
	s_cbranch_execz .LBB25_11
; %bb.10:
	global_load_dword v29, v[8:9], off offset:1024
.LBB25_11:
	;; [unrolled: 18-line block ×5, first 2 shown]
	s_or_b64 exec, exec, s[22:23]
	v_add_u32_e32 v7, 0x2c0, v7
	v_cmp_gt_u32_e64 s[22:23], s55, v7
	s_and_saveexec_b64 s[24:25], s[22:23]
	s_cbranch_execz .LBB25_25
; %bb.24:
	global_load_dword v12, v[8:9], off offset:2816
.LBB25_25:
	s_or_b64 exec, exec, s[24:25]
	s_load_dword s24, s[0:1], 0x5c
	s_load_dword s3, s[0:1], 0x50
	s_add_u32 s25, s0, 0x50
	s_addc_u32 s26, s1, 0
	v_mov_b32_e32 v9, 0
	s_waitcnt lgkmcnt(0)
	s_lshr_b32 s27, s24, 16
	s_cmp_lt_u32 s2, s3
	s_cselect_b32 s24, 12, 18
	s_add_u32 s24, s25, s24
	s_addc_u32 s25, s26, 0
	global_load_ushort v19, v9, s[24:25]
	s_waitcnt vmcnt(1)
	v_xor_b32_e32 v3, 0x80000000, v3
	s_lshl_b32 s24, -1, s69
	v_lshrrev_b32_e32 v15, s68, v3
	s_not_b32 s33, s24
	v_bfe_u32 v8, v0, 10, 10
	v_bfe_u32 v11, v0, 20, 10
	v_and_b32_e32 v22, s33, v15
	v_mad_u32_u24 v20, v11, s27, v8
	v_and_b32_e32 v8, 1, v22
	v_lshlrev_b32_e32 v11, 30, v22
	v_mov_b32_e32 v10, v9
	v_mov_b32_e32 v16, v9
	v_lshlrev_b32_e32 v15, 29, v22
	v_lshlrev_b32_e32 v17, 28, v22
	v_lshl_add_u64 v[42:43], v[8:9], 0, -1
	v_cmp_ne_u32_e64 s[24:25], 0, v8
	v_not_b32_e32 v8, v11
	v_mov_b32_e32 v14, v9
	v_mov_b32_e32 v24, v9
	v_lshlrev_b32_e32 v25, 27, v22
	v_cmp_gt_i64_e64 s[26:27], 0, v[10:11]
	v_not_b32_e32 v10, v15
	v_cmp_gt_i64_e64 s[30:31], 0, v[16:17]
	v_not_b32_e32 v11, v17
	v_xor_b32_e32 v17, s25, v43
	v_ashrrev_i32_e32 v8, 31, v8
	v_cmp_gt_i64_e64 s[28:29], 0, v[14:15]
	v_cmp_gt_i64_e64 s[34:35], 0, v[24:25]
	v_not_b32_e32 v14, v25
	v_xor_b32_e32 v24, s24, v42
	v_ashrrev_i32_e32 v10, 31, v10
	v_and_b32_e32 v17, exec_hi, v17
	v_xor_b32_e32 v25, s27, v8
	v_mov_b32_e32 v30, v9
	v_lshlrev_b32_e32 v31, 26, v22
	v_ashrrev_i32_e32 v11, 31, v11
	v_and_b32_e32 v24, exec_lo, v24
	v_xor_b32_e32 v8, s26, v8
	v_xor_b32_e32 v26, s29, v10
	v_and_b32_e32 v17, v17, v25
	v_lshlrev_b32_e32 v41, 25, v22
	v_cmp_gt_i64_e64 s[36:37], 0, v[30:31]
	v_not_b32_e32 v15, v31
	v_ashrrev_i32_e32 v14, 31, v14
	v_xor_b32_e32 v10, s28, v10
	v_xor_b32_e32 v30, s31, v11
	v_and_b32_e32 v8, v24, v8
	v_and_b32_e32 v17, v17, v26
	v_mov_b32_e32 v40, v9
	v_not_b32_e32 v16, v41
	v_ashrrev_i32_e32 v15, 31, v15
	v_xor_b32_e32 v31, s35, v14
	v_and_b32_e32 v8, v8, v10
	v_and_b32_e32 v10, v17, v30
	v_cmp_gt_i64_e64 s[38:39], 0, v[40:41]
	v_ashrrev_i32_e32 v16, 31, v16
	v_xor_b32_e32 v11, s30, v11
	v_xor_b32_e32 v33, s37, v15
	v_and_b32_e32 v10, v10, v31
	v_xor_b32_e32 v14, s34, v14
	v_xor_b32_e32 v35, s39, v16
	v_and_b32_e32 v8, v8, v11
	v_and_b32_e32 v10, v10, v33
	;; [unrolled: 1-line block ×4, first 2 shown]
	v_xor_b32_e32 v15, s36, v15
	v_xor_b32_e32 v16, s38, v16
	v_and_b32_e32 v8, v8, v15
	v_and_b32_e32 v8, v8, v16
	v_mul_u32_u24_e32 v7, 5, v2
	v_lshl_add_u32 v28, v22, 4, v22
	v_lshlrev_b32_e32 v7, 2, v7
	ds_write2_b32 v7, v9, v9 offset0:16 offset1:17
	ds_write2_b32 v7, v9, v9 offset0:18 offset1:19
	ds_write_b32 v7, v9 offset:80
	s_waitcnt lgkmcnt(0)
	s_barrier
	s_waitcnt lgkmcnt(0)
	; wave barrier
	s_waitcnt vmcnt(0)
	v_mad_u64_u32 v[10:11], s[24:25], v20, v19, v[2:3]
	v_lshrrev_b32_e32 v26, 6, v10
	v_lshlrev_b32_e32 v11, 24, v22
	v_mov_b32_e32 v10, v9
	v_cmp_gt_i64_e64 s[24:25], 0, v[10:11]
	v_not_b32_e32 v10, v11
	v_ashrrev_i32_e32 v10, 31, v10
	v_xor_b32_e32 v11, s25, v10
	v_xor_b32_e32 v10, s24, v10
	v_and_b32_e32 v10, v8, v10
	v_and_b32_e32 v11, v14, v11
	v_mbcnt_lo_u32_b32 v8, v10, 0
	v_mbcnt_hi_u32_b32 v14, v11, v8
	v_cmp_eq_u32_e64 s[24:25], 0, v14
	v_cmp_ne_u64_e64 s[26:27], 0, v[10:11]
	v_add_lshl_u32 v16, v26, v28, 2
	s_and_b64 s[26:27], s[26:27], s[24:25]
	s_and_saveexec_b64 s[24:25], s[26:27]
	s_cbranch_execz .LBB25_27
; %bb.26:
	v_bcnt_u32_b32 v8, v10, 0
	v_bcnt_u32_b32 v8, v11, v8
	ds_write_b32 v16, v8 offset:64
.LBB25_27:
	s_or_b64 exec, exec, s[24:25]
	v_xor_b32_e32 v13, 0x80000000, v13
	v_lshrrev_b32_e32 v8, s68, v13
	v_and_b32_e32 v19, s33, v8
	v_lshl_add_u32 v8, v19, 4, v19
	v_add_lshl_u32 v17, v26, v8, 2
	v_and_b32_e32 v8, 1, v19
	v_lshl_add_u64 v[10:11], v[8:9], 0, -1
	v_cmp_ne_u32_e64 s[24:25], 0, v8
	; wave barrier
	s_nop 1
	v_xor_b32_e32 v10, s24, v10
	v_xor_b32_e32 v8, s25, v11
	v_and_b32_e32 v20, exec_lo, v10
	v_lshlrev_b32_e32 v11, 30, v19
	v_mov_b32_e32 v10, v9
	v_cmp_gt_i64_e64 s[24:25], 0, v[10:11]
	v_not_b32_e32 v10, v11
	v_ashrrev_i32_e32 v10, 31, v10
	v_and_b32_e32 v8, exec_hi, v8
	v_xor_b32_e32 v11, s25, v10
	v_xor_b32_e32 v10, s24, v10
	v_and_b32_e32 v8, v8, v11
	v_and_b32_e32 v20, v20, v10
	v_lshlrev_b32_e32 v11, 29, v19
	v_mov_b32_e32 v10, v9
	v_cmp_gt_i64_e64 s[24:25], 0, v[10:11]
	v_not_b32_e32 v10, v11
	v_ashrrev_i32_e32 v10, 31, v10
	v_xor_b32_e32 v11, s25, v10
	v_xor_b32_e32 v10, s24, v10
	v_and_b32_e32 v8, v8, v11
	v_and_b32_e32 v20, v20, v10
	v_lshlrev_b32_e32 v11, 28, v19
	v_mov_b32_e32 v10, v9
	v_cmp_gt_i64_e64 s[24:25], 0, v[10:11]
	v_not_b32_e32 v10, v11
	v_ashrrev_i32_e32 v10, 31, v10
	;; [unrolled: 9-line block ×5, first 2 shown]
	v_xor_b32_e32 v11, s25, v10
	v_xor_b32_e32 v10, s24, v10
	v_and_b32_e32 v8, v8, v11
	v_lshlrev_b32_e32 v11, 24, v19
	v_and_b32_e32 v20, v20, v10
	v_mov_b32_e32 v10, v9
	v_not_b32_e32 v9, v11
	v_cmp_gt_i64_e64 s[24:25], 0, v[10:11]
	v_ashrrev_i32_e32 v9, 31, v9
	ds_read_b32 v15, v17 offset:64
	v_xor_b32_e32 v10, s25, v9
	v_xor_b32_e32 v11, s24, v9
	v_and_b32_e32 v9, v8, v10
	v_and_b32_e32 v8, v20, v11
	v_mbcnt_lo_u32_b32 v10, v8, 0
	v_mbcnt_hi_u32_b32 v19, v9, v10
	v_cmp_eq_u32_e64 s[24:25], 0, v19
	v_cmp_ne_u64_e64 s[26:27], 0, v[8:9]
	s_and_b64 s[26:27], s[26:27], s[24:25]
	; wave barrier
	s_and_saveexec_b64 s[24:25], s[26:27]
	s_cbranch_execz .LBB25_29
; %bb.28:
	v_bcnt_u32_b32 v8, v8, 0
	v_bcnt_u32_b32 v8, v9, v8
	s_waitcnt lgkmcnt(0)
	v_add_u32_e32 v8, v15, v8
	ds_write_b32 v17, v8 offset:64
.LBB25_29:
	s_or_b64 exec, exec, s[24:25]
	v_xor_b32_e32 v18, 0x80000000, v18
	v_lshrrev_b32_e32 v8, s68, v18
	v_and_b32_e32 v24, s33, v8
	v_lshl_add_u32 v8, v24, 4, v24
	v_add_lshl_u32 v22, v26, v8, 2
	v_and_b32_e32 v8, 1, v24
	v_mov_b32_e32 v9, 0
	v_lshl_add_u64 v[10:11], v[8:9], 0, -1
	v_cmp_ne_u32_e64 s[24:25], 0, v8
	; wave barrier
	s_nop 1
	v_xor_b32_e32 v10, s24, v10
	v_xor_b32_e32 v8, s25, v11
	v_and_b32_e32 v25, exec_lo, v10
	v_lshlrev_b32_e32 v11, 30, v24
	v_mov_b32_e32 v10, v9
	v_cmp_gt_i64_e64 s[24:25], 0, v[10:11]
	v_not_b32_e32 v10, v11
	v_ashrrev_i32_e32 v10, 31, v10
	v_and_b32_e32 v8, exec_hi, v8
	v_xor_b32_e32 v11, s25, v10
	v_xor_b32_e32 v10, s24, v10
	v_and_b32_e32 v8, v8, v11
	v_and_b32_e32 v25, v25, v10
	v_lshlrev_b32_e32 v11, 29, v24
	v_mov_b32_e32 v10, v9
	v_cmp_gt_i64_e64 s[24:25], 0, v[10:11]
	v_not_b32_e32 v10, v11
	v_ashrrev_i32_e32 v10, 31, v10
	v_xor_b32_e32 v11, s25, v10
	v_xor_b32_e32 v10, s24, v10
	v_and_b32_e32 v8, v8, v11
	v_and_b32_e32 v25, v25, v10
	v_lshlrev_b32_e32 v11, 28, v24
	v_mov_b32_e32 v10, v9
	v_cmp_gt_i64_e64 s[24:25], 0, v[10:11]
	v_not_b32_e32 v10, v11
	v_ashrrev_i32_e32 v10, 31, v10
	;; [unrolled: 9-line block ×6, first 2 shown]
	v_xor_b32_e32 v11, s25, v10
	v_xor_b32_e32 v10, s24, v10
	ds_read_b32 v20, v22 offset:64
	v_and_b32_e32 v10, v25, v10
	v_and_b32_e32 v11, v8, v11
	v_mbcnt_lo_u32_b32 v8, v10, 0
	v_mbcnt_hi_u32_b32 v24, v11, v8
	v_cmp_eq_u32_e64 s[24:25], 0, v24
	v_cmp_ne_u64_e64 s[26:27], 0, v[10:11]
	s_and_b64 s[26:27], s[26:27], s[24:25]
	; wave barrier
	s_and_saveexec_b64 s[24:25], s[26:27]
	s_cbranch_execz .LBB25_31
; %bb.30:
	v_bcnt_u32_b32 v8, v10, 0
	v_bcnt_u32_b32 v8, v11, v8
	s_waitcnt lgkmcnt(0)
	v_add_u32_e32 v8, v20, v8
	ds_write_b32 v22, v8 offset:64
.LBB25_31:
	s_or_b64 exec, exec, s[24:25]
	v_xor_b32_e32 v23, 0x80000000, v23
	v_lshrrev_b32_e32 v8, s68, v23
	v_and_b32_e32 v30, s33, v8
	v_lshl_add_u32 v8, v30, 4, v30
	v_add_lshl_u32 v28, v26, v8, 2
	v_and_b32_e32 v8, 1, v30
	v_lshl_add_u64 v[10:11], v[8:9], 0, -1
	v_cmp_ne_u32_e64 s[24:25], 0, v8
	; wave barrier
	s_nop 1
	v_xor_b32_e32 v10, s24, v10
	v_xor_b32_e32 v8, s25, v11
	v_and_b32_e32 v31, exec_lo, v10
	v_lshlrev_b32_e32 v11, 30, v30
	v_mov_b32_e32 v10, v9
	v_cmp_gt_i64_e64 s[24:25], 0, v[10:11]
	v_not_b32_e32 v10, v11
	v_ashrrev_i32_e32 v10, 31, v10
	v_and_b32_e32 v8, exec_hi, v8
	v_xor_b32_e32 v11, s25, v10
	v_xor_b32_e32 v10, s24, v10
	v_and_b32_e32 v8, v8, v11
	v_and_b32_e32 v31, v31, v10
	v_lshlrev_b32_e32 v11, 29, v30
	v_mov_b32_e32 v10, v9
	v_cmp_gt_i64_e64 s[24:25], 0, v[10:11]
	v_not_b32_e32 v10, v11
	v_ashrrev_i32_e32 v10, 31, v10
	v_xor_b32_e32 v11, s25, v10
	v_xor_b32_e32 v10, s24, v10
	v_and_b32_e32 v8, v8, v11
	v_and_b32_e32 v31, v31, v10
	v_lshlrev_b32_e32 v11, 28, v30
	v_mov_b32_e32 v10, v9
	v_cmp_gt_i64_e64 s[24:25], 0, v[10:11]
	v_not_b32_e32 v10, v11
	v_ashrrev_i32_e32 v10, 31, v10
	v_xor_b32_e32 v11, s25, v10
	v_xor_b32_e32 v10, s24, v10
	v_and_b32_e32 v8, v8, v11
	v_and_b32_e32 v31, v31, v10
	v_lshlrev_b32_e32 v11, 27, v30
	v_mov_b32_e32 v10, v9
	v_cmp_gt_i64_e64 s[24:25], 0, v[10:11]
	v_not_b32_e32 v10, v11
	v_ashrrev_i32_e32 v10, 31, v10
	v_xor_b32_e32 v11, s25, v10
	v_xor_b32_e32 v10, s24, v10
	v_and_b32_e32 v8, v8, v11
	v_and_b32_e32 v31, v31, v10
	v_lshlrev_b32_e32 v11, 26, v30
	v_mov_b32_e32 v10, v9
	v_cmp_gt_i64_e64 s[24:25], 0, v[10:11]
	v_not_b32_e32 v10, v11
	v_ashrrev_i32_e32 v10, 31, v10
	v_xor_b32_e32 v11, s25, v10
	v_xor_b32_e32 v10, s24, v10
	v_and_b32_e32 v8, v8, v11
	v_and_b32_e32 v31, v31, v10
	v_lshlrev_b32_e32 v11, 25, v30
	v_mov_b32_e32 v10, v9
	v_cmp_gt_i64_e64 s[24:25], 0, v[10:11]
	v_not_b32_e32 v10, v11
	v_ashrrev_i32_e32 v10, 31, v10
	v_xor_b32_e32 v11, s25, v10
	v_xor_b32_e32 v10, s24, v10
	v_and_b32_e32 v8, v8, v11
	v_lshlrev_b32_e32 v11, 24, v30
	v_and_b32_e32 v31, v31, v10
	v_mov_b32_e32 v10, v9
	v_not_b32_e32 v9, v11
	v_cmp_gt_i64_e64 s[24:25], 0, v[10:11]
	v_ashrrev_i32_e32 v9, 31, v9
	ds_read_b32 v25, v28 offset:64
	v_xor_b32_e32 v10, s25, v9
	v_xor_b32_e32 v11, s24, v9
	v_and_b32_e32 v9, v8, v10
	v_and_b32_e32 v8, v31, v11
	v_mbcnt_lo_u32_b32 v10, v8, 0
	v_mbcnt_hi_u32_b32 v30, v9, v10
	v_cmp_eq_u32_e64 s[24:25], 0, v30
	v_cmp_ne_u64_e64 s[26:27], 0, v[8:9]
	s_and_b64 s[26:27], s[26:27], s[24:25]
	; wave barrier
	s_and_saveexec_b64 s[24:25], s[26:27]
	s_cbranch_execz .LBB25_33
; %bb.32:
	v_bcnt_u32_b32 v8, v8, 0
	v_bcnt_u32_b32 v8, v9, v8
	s_waitcnt lgkmcnt(0)
	v_add_u32_e32 v8, v25, v8
	ds_write_b32 v28, v8 offset:64
.LBB25_33:
	s_or_b64 exec, exec, s[24:25]
	v_xor_b32_e32 v29, 0x80000000, v29
	v_lshrrev_b32_e32 v8, s68, v29
	v_and_b32_e32 v35, s33, v8
	v_lshl_add_u32 v8, v35, 4, v35
	v_add_lshl_u32 v33, v26, v8, 2
	v_and_b32_e32 v8, 1, v35
	v_mov_b32_e32 v9, 0
	v_lshl_add_u64 v[10:11], v[8:9], 0, -1
	v_cmp_ne_u32_e64 s[24:25], 0, v8
	; wave barrier
	s_nop 1
	v_xor_b32_e32 v10, s24, v10
	v_xor_b32_e32 v8, s25, v11
	v_and_b32_e32 v37, exec_lo, v10
	v_lshlrev_b32_e32 v11, 30, v35
	v_mov_b32_e32 v10, v9
	v_cmp_gt_i64_e64 s[24:25], 0, v[10:11]
	v_not_b32_e32 v10, v11
	v_ashrrev_i32_e32 v10, 31, v10
	v_and_b32_e32 v8, exec_hi, v8
	v_xor_b32_e32 v11, s25, v10
	v_xor_b32_e32 v10, s24, v10
	v_and_b32_e32 v8, v8, v11
	v_and_b32_e32 v37, v37, v10
	v_lshlrev_b32_e32 v11, 29, v35
	v_mov_b32_e32 v10, v9
	v_cmp_gt_i64_e64 s[24:25], 0, v[10:11]
	v_not_b32_e32 v10, v11
	v_ashrrev_i32_e32 v10, 31, v10
	v_xor_b32_e32 v11, s25, v10
	v_xor_b32_e32 v10, s24, v10
	v_and_b32_e32 v8, v8, v11
	v_and_b32_e32 v37, v37, v10
	v_lshlrev_b32_e32 v11, 28, v35
	v_mov_b32_e32 v10, v9
	v_cmp_gt_i64_e64 s[24:25], 0, v[10:11]
	v_not_b32_e32 v10, v11
	v_ashrrev_i32_e32 v10, 31, v10
	;; [unrolled: 9-line block ×6, first 2 shown]
	v_xor_b32_e32 v11, s25, v10
	v_xor_b32_e32 v10, s24, v10
	ds_read_b32 v31, v33 offset:64
	v_and_b32_e32 v10, v37, v10
	v_and_b32_e32 v11, v8, v11
	v_mbcnt_lo_u32_b32 v8, v10, 0
	v_mbcnt_hi_u32_b32 v35, v11, v8
	v_cmp_eq_u32_e64 s[24:25], 0, v35
	v_cmp_ne_u64_e64 s[26:27], 0, v[10:11]
	s_and_b64 s[26:27], s[26:27], s[24:25]
	; wave barrier
	s_and_saveexec_b64 s[24:25], s[26:27]
	s_cbranch_execz .LBB25_35
; %bb.34:
	v_bcnt_u32_b32 v8, v10, 0
	v_bcnt_u32_b32 v8, v11, v8
	s_waitcnt lgkmcnt(0)
	v_add_u32_e32 v8, v31, v8
	ds_write_b32 v33, v8 offset:64
.LBB25_35:
	s_or_b64 exec, exec, s[24:25]
	v_xor_b32_e32 v34, 0x80000000, v34
	v_lshrrev_b32_e32 v8, s68, v34
	v_and_b32_e32 v40, s33, v8
	v_lshl_add_u32 v8, v40, 4, v40
	v_add_lshl_u32 v38, v26, v8, 2
	v_and_b32_e32 v8, 1, v40
	v_lshl_add_u64 v[10:11], v[8:9], 0, -1
	v_cmp_ne_u32_e64 s[24:25], 0, v8
	; wave barrier
	s_nop 1
	v_xor_b32_e32 v10, s24, v10
	v_xor_b32_e32 v8, s25, v11
	v_and_b32_e32 v41, exec_lo, v10
	v_lshlrev_b32_e32 v11, 30, v40
	v_mov_b32_e32 v10, v9
	v_cmp_gt_i64_e64 s[24:25], 0, v[10:11]
	v_not_b32_e32 v10, v11
	v_ashrrev_i32_e32 v10, 31, v10
	v_and_b32_e32 v8, exec_hi, v8
	v_xor_b32_e32 v11, s25, v10
	v_xor_b32_e32 v10, s24, v10
	v_and_b32_e32 v8, v8, v11
	v_and_b32_e32 v41, v41, v10
	v_lshlrev_b32_e32 v11, 29, v40
	v_mov_b32_e32 v10, v9
	v_cmp_gt_i64_e64 s[24:25], 0, v[10:11]
	v_not_b32_e32 v10, v11
	v_ashrrev_i32_e32 v10, 31, v10
	v_xor_b32_e32 v11, s25, v10
	v_xor_b32_e32 v10, s24, v10
	v_and_b32_e32 v8, v8, v11
	v_and_b32_e32 v41, v41, v10
	v_lshlrev_b32_e32 v11, 28, v40
	v_mov_b32_e32 v10, v9
	v_cmp_gt_i64_e64 s[24:25], 0, v[10:11]
	v_not_b32_e32 v10, v11
	v_ashrrev_i32_e32 v10, 31, v10
	;; [unrolled: 9-line block ×5, first 2 shown]
	v_xor_b32_e32 v11, s25, v10
	v_xor_b32_e32 v10, s24, v10
	v_and_b32_e32 v8, v8, v11
	v_lshlrev_b32_e32 v11, 24, v40
	v_and_b32_e32 v41, v41, v10
	v_mov_b32_e32 v10, v9
	v_not_b32_e32 v9, v11
	v_cmp_gt_i64_e64 s[24:25], 0, v[10:11]
	v_ashrrev_i32_e32 v9, 31, v9
	ds_read_b32 v37, v38 offset:64
	v_xor_b32_e32 v10, s25, v9
	v_xor_b32_e32 v11, s24, v9
	v_and_b32_e32 v9, v8, v10
	v_and_b32_e32 v8, v41, v11
	v_mbcnt_lo_u32_b32 v10, v8, 0
	v_mbcnt_hi_u32_b32 v40, v9, v10
	v_cmp_eq_u32_e64 s[24:25], 0, v40
	v_cmp_ne_u64_e64 s[26:27], 0, v[8:9]
	s_and_b64 s[26:27], s[26:27], s[24:25]
	; wave barrier
	s_and_saveexec_b64 s[24:25], s[26:27]
	s_cbranch_execz .LBB25_37
; %bb.36:
	v_bcnt_u32_b32 v8, v8, 0
	v_bcnt_u32_b32 v8, v9, v8
	s_waitcnt lgkmcnt(0)
	v_add_u32_e32 v8, v37, v8
	ds_write_b32 v38, v8 offset:64
.LBB25_37:
	s_or_b64 exec, exec, s[24:25]
	v_xor_b32_e32 v39, 0x80000000, v39
	v_lshrrev_b32_e32 v8, s68, v39
	v_and_b32_e32 v43, s33, v8
	v_lshl_add_u32 v8, v43, 4, v43
	v_add_lshl_u32 v42, v26, v8, 2
	v_and_b32_e32 v8, 1, v43
	v_mov_b32_e32 v9, 0
	v_lshl_add_u64 v[10:11], v[8:9], 0, -1
	v_cmp_ne_u32_e64 s[24:25], 0, v8
	; wave barrier
	s_nop 1
	v_xor_b32_e32 v10, s24, v10
	v_xor_b32_e32 v8, s25, v11
	v_and_b32_e32 v44, exec_lo, v10
	v_lshlrev_b32_e32 v11, 30, v43
	v_mov_b32_e32 v10, v9
	v_cmp_gt_i64_e64 s[24:25], 0, v[10:11]
	v_not_b32_e32 v10, v11
	v_ashrrev_i32_e32 v10, 31, v10
	v_and_b32_e32 v8, exec_hi, v8
	v_xor_b32_e32 v11, s25, v10
	v_xor_b32_e32 v10, s24, v10
	v_and_b32_e32 v8, v8, v11
	v_and_b32_e32 v44, v44, v10
	v_lshlrev_b32_e32 v11, 29, v43
	v_mov_b32_e32 v10, v9
	v_cmp_gt_i64_e64 s[24:25], 0, v[10:11]
	v_not_b32_e32 v10, v11
	v_ashrrev_i32_e32 v10, 31, v10
	v_xor_b32_e32 v11, s25, v10
	v_xor_b32_e32 v10, s24, v10
	v_and_b32_e32 v8, v8, v11
	v_and_b32_e32 v44, v44, v10
	v_lshlrev_b32_e32 v11, 28, v43
	v_mov_b32_e32 v10, v9
	v_cmp_gt_i64_e64 s[24:25], 0, v[10:11]
	v_not_b32_e32 v10, v11
	v_ashrrev_i32_e32 v10, 31, v10
	;; [unrolled: 9-line block ×6, first 2 shown]
	v_xor_b32_e32 v11, s25, v10
	v_xor_b32_e32 v10, s24, v10
	ds_read_b32 v41, v42 offset:64
	v_and_b32_e32 v10, v44, v10
	v_and_b32_e32 v11, v8, v11
	v_mbcnt_lo_u32_b32 v8, v10, 0
	v_mbcnt_hi_u32_b32 v44, v11, v8
	v_cmp_eq_u32_e64 s[24:25], 0, v44
	v_cmp_ne_u64_e64 s[26:27], 0, v[10:11]
	s_and_b64 s[26:27], s[26:27], s[24:25]
	; wave barrier
	s_and_saveexec_b64 s[24:25], s[26:27]
	s_cbranch_execz .LBB25_39
; %bb.38:
	v_bcnt_u32_b32 v8, v10, 0
	v_bcnt_u32_b32 v8, v11, v8
	s_waitcnt lgkmcnt(0)
	v_add_u32_e32 v8, v41, v8
	ds_write_b32 v42, v8 offset:64
.LBB25_39:
	s_or_b64 exec, exec, s[24:25]
	v_xor_b32_e32 v43, 0x80000000, v36
	v_lshrrev_b32_e32 v8, s68, v43
	v_and_b32_e32 v46, s33, v8
	v_lshl_add_u32 v8, v46, 4, v46
	v_add_lshl_u32 v45, v26, v8, 2
	v_and_b32_e32 v8, 1, v46
	v_lshl_add_u64 v[10:11], v[8:9], 0, -1
	v_cmp_ne_u32_e64 s[24:25], 0, v8
	; wave barrier
	s_nop 1
	v_xor_b32_e32 v10, s24, v10
	v_xor_b32_e32 v8, s25, v11
	v_and_b32_e32 v47, exec_lo, v10
	v_lshlrev_b32_e32 v11, 30, v46
	v_mov_b32_e32 v10, v9
	v_cmp_gt_i64_e64 s[24:25], 0, v[10:11]
	v_not_b32_e32 v10, v11
	v_ashrrev_i32_e32 v10, 31, v10
	v_and_b32_e32 v8, exec_hi, v8
	v_xor_b32_e32 v11, s25, v10
	v_xor_b32_e32 v10, s24, v10
	v_and_b32_e32 v8, v8, v11
	v_and_b32_e32 v47, v47, v10
	v_lshlrev_b32_e32 v11, 29, v46
	v_mov_b32_e32 v10, v9
	v_cmp_gt_i64_e64 s[24:25], 0, v[10:11]
	v_not_b32_e32 v10, v11
	v_ashrrev_i32_e32 v10, 31, v10
	v_xor_b32_e32 v11, s25, v10
	v_xor_b32_e32 v10, s24, v10
	v_and_b32_e32 v8, v8, v11
	v_and_b32_e32 v47, v47, v10
	v_lshlrev_b32_e32 v11, 28, v46
	v_mov_b32_e32 v10, v9
	v_cmp_gt_i64_e64 s[24:25], 0, v[10:11]
	v_not_b32_e32 v10, v11
	v_ashrrev_i32_e32 v10, 31, v10
	;; [unrolled: 9-line block ×5, first 2 shown]
	v_xor_b32_e32 v11, s25, v10
	v_xor_b32_e32 v10, s24, v10
	v_and_b32_e32 v8, v8, v11
	v_lshlrev_b32_e32 v11, 24, v46
	v_and_b32_e32 v47, v47, v10
	v_mov_b32_e32 v10, v9
	v_not_b32_e32 v9, v11
	v_cmp_gt_i64_e64 s[24:25], 0, v[10:11]
	v_ashrrev_i32_e32 v9, 31, v9
	ds_read_b32 v36, v45 offset:64
	v_xor_b32_e32 v10, s25, v9
	v_xor_b32_e32 v11, s24, v9
	v_and_b32_e32 v9, v8, v10
	v_and_b32_e32 v8, v47, v11
	v_mbcnt_lo_u32_b32 v10, v8, 0
	v_mbcnt_hi_u32_b32 v47, v9, v10
	v_cmp_eq_u32_e64 s[24:25], 0, v47
	v_cmp_ne_u64_e64 s[26:27], 0, v[8:9]
	s_and_b64 s[26:27], s[26:27], s[24:25]
	; wave barrier
	s_and_saveexec_b64 s[24:25], s[26:27]
	s_cbranch_execz .LBB25_41
; %bb.40:
	v_bcnt_u32_b32 v8, v8, 0
	v_bcnt_u32_b32 v8, v9, v8
	s_waitcnt lgkmcnt(0)
	v_add_u32_e32 v8, v36, v8
	ds_write_b32 v45, v8 offset:64
.LBB25_41:
	s_or_b64 exec, exec, s[24:25]
	v_xor_b32_e32 v46, 0x80000000, v32
	v_lshrrev_b32_e32 v8, s68, v46
	v_and_b32_e32 v49, s33, v8
	v_lshl_add_u32 v8, v49, 4, v49
	v_add_lshl_u32 v32, v26, v8, 2
	v_and_b32_e32 v8, 1, v49
	v_mov_b32_e32 v9, 0
	v_lshl_add_u64 v[10:11], v[8:9], 0, -1
	v_cmp_ne_u32_e64 s[24:25], 0, v8
	; wave barrier
	s_nop 1
	v_xor_b32_e32 v10, s24, v10
	v_xor_b32_e32 v8, s25, v11
	v_and_b32_e32 v50, exec_lo, v10
	v_lshlrev_b32_e32 v11, 30, v49
	v_mov_b32_e32 v10, v9
	v_cmp_gt_i64_e64 s[24:25], 0, v[10:11]
	v_not_b32_e32 v10, v11
	v_ashrrev_i32_e32 v10, 31, v10
	v_and_b32_e32 v8, exec_hi, v8
	v_xor_b32_e32 v11, s25, v10
	v_xor_b32_e32 v10, s24, v10
	v_and_b32_e32 v8, v8, v11
	v_and_b32_e32 v50, v50, v10
	v_lshlrev_b32_e32 v11, 29, v49
	v_mov_b32_e32 v10, v9
	v_cmp_gt_i64_e64 s[24:25], 0, v[10:11]
	v_not_b32_e32 v10, v11
	v_ashrrev_i32_e32 v10, 31, v10
	v_xor_b32_e32 v11, s25, v10
	v_xor_b32_e32 v10, s24, v10
	v_and_b32_e32 v8, v8, v11
	v_and_b32_e32 v50, v50, v10
	v_lshlrev_b32_e32 v11, 28, v49
	v_mov_b32_e32 v10, v9
	v_cmp_gt_i64_e64 s[24:25], 0, v[10:11]
	v_not_b32_e32 v10, v11
	v_ashrrev_i32_e32 v10, 31, v10
	;; [unrolled: 9-line block ×6, first 2 shown]
	v_xor_b32_e32 v11, s25, v10
	v_xor_b32_e32 v10, s24, v10
	ds_read_b32 v48, v32 offset:64
	v_and_b32_e32 v10, v50, v10
	v_and_b32_e32 v11, v8, v11
	v_mbcnt_lo_u32_b32 v8, v10, 0
	v_mbcnt_hi_u32_b32 v50, v11, v8
	v_cmp_eq_u32_e64 s[24:25], 0, v50
	v_cmp_ne_u64_e64 s[26:27], 0, v[10:11]
	s_and_b64 s[26:27], s[26:27], s[24:25]
	; wave barrier
	s_and_saveexec_b64 s[24:25], s[26:27]
	s_cbranch_execz .LBB25_43
; %bb.42:
	v_bcnt_u32_b32 v8, v10, 0
	v_bcnt_u32_b32 v8, v11, v8
	s_waitcnt lgkmcnt(0)
	v_add_u32_e32 v8, v48, v8
	ds_write_b32 v32, v8 offset:64
.LBB25_43:
	s_or_b64 exec, exec, s[24:25]
	v_xor_b32_e32 v49, 0x80000000, v27
	v_lshrrev_b32_e32 v8, s68, v49
	v_and_b32_e32 v52, s33, v8
	v_lshl_add_u32 v8, v52, 4, v52
	v_add_lshl_u32 v27, v26, v8, 2
	v_and_b32_e32 v8, 1, v52
	v_lshl_add_u64 v[10:11], v[8:9], 0, -1
	v_cmp_ne_u32_e64 s[24:25], 0, v8
	; wave barrier
	s_nop 1
	v_xor_b32_e32 v10, s24, v10
	v_xor_b32_e32 v8, s25, v11
	v_and_b32_e32 v53, exec_lo, v10
	v_lshlrev_b32_e32 v11, 30, v52
	v_mov_b32_e32 v10, v9
	v_cmp_gt_i64_e64 s[24:25], 0, v[10:11]
	v_not_b32_e32 v10, v11
	v_ashrrev_i32_e32 v10, 31, v10
	v_and_b32_e32 v8, exec_hi, v8
	v_xor_b32_e32 v11, s25, v10
	v_xor_b32_e32 v10, s24, v10
	v_and_b32_e32 v8, v8, v11
	v_and_b32_e32 v53, v53, v10
	v_lshlrev_b32_e32 v11, 29, v52
	v_mov_b32_e32 v10, v9
	v_cmp_gt_i64_e64 s[24:25], 0, v[10:11]
	v_not_b32_e32 v10, v11
	v_ashrrev_i32_e32 v10, 31, v10
	v_xor_b32_e32 v11, s25, v10
	v_xor_b32_e32 v10, s24, v10
	v_and_b32_e32 v8, v8, v11
	v_and_b32_e32 v53, v53, v10
	v_lshlrev_b32_e32 v11, 28, v52
	v_mov_b32_e32 v10, v9
	v_cmp_gt_i64_e64 s[24:25], 0, v[10:11]
	v_not_b32_e32 v10, v11
	v_ashrrev_i32_e32 v10, 31, v10
	;; [unrolled: 9-line block ×5, first 2 shown]
	v_xor_b32_e32 v11, s25, v10
	v_xor_b32_e32 v10, s24, v10
	v_and_b32_e32 v8, v8, v11
	v_lshlrev_b32_e32 v11, 24, v52
	v_and_b32_e32 v53, v53, v10
	v_mov_b32_e32 v10, v9
	v_not_b32_e32 v9, v11
	v_cmp_gt_i64_e64 s[24:25], 0, v[10:11]
	v_ashrrev_i32_e32 v9, 31, v9
	ds_read_b32 v51, v27 offset:64
	v_xor_b32_e32 v10, s25, v9
	v_xor_b32_e32 v11, s24, v9
	v_and_b32_e32 v9, v8, v10
	v_and_b32_e32 v8, v53, v11
	v_mbcnt_lo_u32_b32 v10, v8, 0
	v_mbcnt_hi_u32_b32 v53, v9, v10
	v_cmp_eq_u32_e64 s[24:25], 0, v53
	v_cmp_ne_u64_e64 s[26:27], 0, v[8:9]
	s_and_b64 s[26:27], s[26:27], s[24:25]
	; wave barrier
	s_and_saveexec_b64 s[24:25], s[26:27]
	s_cbranch_execz .LBB25_45
; %bb.44:
	v_bcnt_u32_b32 v8, v8, 0
	v_bcnt_u32_b32 v8, v9, v8
	s_waitcnt lgkmcnt(0)
	v_add_u32_e32 v8, v51, v8
	ds_write_b32 v27, v8 offset:64
.LBB25_45:
	s_or_b64 exec, exec, s[24:25]
	v_xor_b32_e32 v52, 0x80000000, v21
	v_lshrrev_b32_e32 v8, s68, v52
	v_and_b32_e32 v55, s33, v8
	v_lshl_add_u32 v8, v55, 4, v55
	v_add_lshl_u32 v21, v26, v8, 2
	v_and_b32_e32 v8, 1, v55
	v_mov_b32_e32 v9, 0
	v_lshl_add_u64 v[10:11], v[8:9], 0, -1
	v_cmp_ne_u32_e64 s[24:25], 0, v8
	; wave barrier
	s_nop 1
	v_xor_b32_e32 v10, s24, v10
	v_xor_b32_e32 v8, s25, v11
	v_and_b32_e32 v56, exec_lo, v10
	v_lshlrev_b32_e32 v11, 30, v55
	v_mov_b32_e32 v10, v9
	v_cmp_gt_i64_e64 s[24:25], 0, v[10:11]
	v_not_b32_e32 v10, v11
	v_ashrrev_i32_e32 v10, 31, v10
	v_and_b32_e32 v8, exec_hi, v8
	v_xor_b32_e32 v11, s25, v10
	v_xor_b32_e32 v10, s24, v10
	v_and_b32_e32 v8, v8, v11
	v_and_b32_e32 v56, v56, v10
	v_lshlrev_b32_e32 v11, 29, v55
	v_mov_b32_e32 v10, v9
	v_cmp_gt_i64_e64 s[24:25], 0, v[10:11]
	v_not_b32_e32 v10, v11
	v_ashrrev_i32_e32 v10, 31, v10
	v_xor_b32_e32 v11, s25, v10
	v_xor_b32_e32 v10, s24, v10
	v_and_b32_e32 v8, v8, v11
	v_and_b32_e32 v56, v56, v10
	v_lshlrev_b32_e32 v11, 28, v55
	v_mov_b32_e32 v10, v9
	v_cmp_gt_i64_e64 s[24:25], 0, v[10:11]
	v_not_b32_e32 v10, v11
	v_ashrrev_i32_e32 v10, 31, v10
	;; [unrolled: 9-line block ×6, first 2 shown]
	v_xor_b32_e32 v11, s25, v10
	v_xor_b32_e32 v10, s24, v10
	ds_read_b32 v54, v21 offset:64
	v_and_b32_e32 v10, v56, v10
	v_and_b32_e32 v11, v8, v11
	v_mbcnt_lo_u32_b32 v8, v10, 0
	v_mbcnt_hi_u32_b32 v56, v11, v8
	v_cmp_eq_u32_e64 s[24:25], 0, v56
	v_cmp_ne_u64_e64 s[26:27], 0, v[10:11]
	s_and_b64 s[26:27], s[26:27], s[24:25]
	; wave barrier
	s_and_saveexec_b64 s[24:25], s[26:27]
	s_cbranch_execz .LBB25_47
; %bb.46:
	v_bcnt_u32_b32 v8, v10, 0
	v_bcnt_u32_b32 v8, v11, v8
	s_waitcnt lgkmcnt(0)
	v_add_u32_e32 v8, v54, v8
	ds_write_b32 v21, v8 offset:64
.LBB25_47:
	s_or_b64 exec, exec, s[24:25]
	v_xor_b32_e32 v55, 0x80000000, v12
	v_lshrrev_b32_e32 v8, s68, v55
	v_and_b32_e32 v12, s33, v8
	v_lshl_add_u32 v8, v12, 4, v12
	v_add_lshl_u32 v57, v26, v8, 2
	v_and_b32_e32 v8, 1, v12
	v_lshl_add_u64 v[10:11], v[8:9], 0, -1
	v_cmp_ne_u32_e64 s[24:25], 0, v8
	; wave barrier
	s_nop 1
	v_xor_b32_e32 v10, s24, v10
	v_xor_b32_e32 v8, s25, v11
	v_and_b32_e32 v59, exec_lo, v10
	v_lshlrev_b32_e32 v11, 30, v12
	v_mov_b32_e32 v10, v9
	v_cmp_gt_i64_e64 s[24:25], 0, v[10:11]
	v_not_b32_e32 v10, v11
	v_ashrrev_i32_e32 v10, 31, v10
	v_and_b32_e32 v8, exec_hi, v8
	v_xor_b32_e32 v11, s25, v10
	v_xor_b32_e32 v10, s24, v10
	v_and_b32_e32 v8, v8, v11
	v_and_b32_e32 v59, v59, v10
	v_lshlrev_b32_e32 v11, 29, v12
	v_mov_b32_e32 v10, v9
	v_cmp_gt_i64_e64 s[24:25], 0, v[10:11]
	v_not_b32_e32 v10, v11
	v_ashrrev_i32_e32 v10, 31, v10
	v_xor_b32_e32 v11, s25, v10
	v_xor_b32_e32 v10, s24, v10
	v_and_b32_e32 v8, v8, v11
	v_and_b32_e32 v59, v59, v10
	v_lshlrev_b32_e32 v11, 28, v12
	v_mov_b32_e32 v10, v9
	v_cmp_gt_i64_e64 s[24:25], 0, v[10:11]
	v_not_b32_e32 v10, v11
	v_ashrrev_i32_e32 v10, 31, v10
	;; [unrolled: 9-line block ×5, first 2 shown]
	v_xor_b32_e32 v11, s25, v10
	v_xor_b32_e32 v10, s24, v10
	v_and_b32_e32 v8, v8, v11
	v_lshlrev_b32_e32 v11, 24, v12
	v_and_b32_e32 v59, v59, v10
	v_mov_b32_e32 v10, v9
	v_not_b32_e32 v9, v11
	v_cmp_gt_i64_e64 s[24:25], 0, v[10:11]
	v_ashrrev_i32_e32 v9, 31, v9
	ds_read_b32 v26, v57 offset:64
	v_xor_b32_e32 v10, s25, v9
	v_xor_b32_e32 v11, s24, v9
	v_and_b32_e32 v9, v8, v10
	v_and_b32_e32 v8, v59, v11
	v_mbcnt_lo_u32_b32 v10, v8, 0
	v_mbcnt_hi_u32_b32 v59, v9, v10
	v_cmp_eq_u32_e64 s[24:25], 0, v59
	v_cmp_ne_u64_e64 s[26:27], 0, v[8:9]
	v_add_u32_e32 v58, 64, v7
	s_and_b64 s[26:27], s[26:27], s[24:25]
	; wave barrier
	s_and_saveexec_b64 s[24:25], s[26:27]
	s_cbranch_execz .LBB25_49
; %bb.48:
	v_bcnt_u32_b32 v8, v8, 0
	v_bcnt_u32_b32 v8, v9, v8
	s_waitcnt lgkmcnt(0)
	v_add_u32_e32 v8, v26, v8
	ds_write_b32 v57, v8 offset:64
.LBB25_49:
	s_or_b64 exec, exec, s[24:25]
	; wave barrier
	s_waitcnt lgkmcnt(0)
	s_barrier
	ds_read2_b32 v[10:11], v7 offset0:16 offset1:17
	ds_read2_b32 v[8:9], v58 offset0:2 offset1:3
	ds_read_b32 v12, v58 offset:16
	v_cmp_lt_u32_e64 s[34:35], 31, v4
	s_waitcnt lgkmcnt(1)
	v_add3_u32 v60, v11, v10, v8
	s_waitcnt lgkmcnt(0)
	v_add3_u32 v12, v60, v9, v12
	v_and_b32_e32 v60, 15, v4
	v_cmp_eq_u32_e64 s[24:25], 0, v60
	v_mov_b32_dpp v61, v12 row_shr:1 row_mask:0xf bank_mask:0xf
	v_cmp_lt_u32_e64 s[26:27], 1, v60
	v_cndmask_b32_e64 v61, v61, 0, s[24:25]
	v_add_u32_e32 v12, v61, v12
	v_cmp_lt_u32_e64 s[28:29], 3, v60
	v_cmp_lt_u32_e64 s[30:31], 7, v60
	v_mov_b32_dpp v61, v12 row_shr:2 row_mask:0xf bank_mask:0xf
	v_cndmask_b32_e64 v61, 0, v61, s[26:27]
	v_add_u32_e32 v12, v12, v61
	s_nop 1
	v_mov_b32_dpp v61, v12 row_shr:4 row_mask:0xf bank_mask:0xf
	v_cndmask_b32_e64 v61, 0, v61, s[28:29]
	v_add_u32_e32 v12, v12, v61
	s_nop 1
	v_mov_b32_dpp v61, v12 row_shr:8 row_mask:0xf bank_mask:0xf
	v_cndmask_b32_e64 v60, 0, v61, s[30:31]
	v_add_u32_e32 v12, v12, v60
	v_bfe_i32 v61, v4, 4, 1
	s_nop 0
	v_mov_b32_dpp v60, v12 row_bcast:15 row_mask:0xf bank_mask:0xf
	v_and_b32_e32 v60, v61, v60
	v_add_u32_e32 v12, v12, v60
	v_lshrrev_b32_e32 v61, 6, v2
	s_nop 0
	v_mov_b32_dpp v60, v12 row_bcast:31 row_mask:0xf bank_mask:0xf
	v_cndmask_b32_e64 v60, 0, v60, s[34:35]
	v_add_u32_e32 v60, v12, v60
	v_and_b32_e32 v12, 63, v2
	v_cmp_eq_u32_e64 s[34:35], 63, v12
	s_and_saveexec_b64 s[36:37], s[34:35]
	s_cbranch_execz .LBB25_51
; %bb.50:
	v_lshlrev_b32_e32 v12, 2, v61
	ds_write_b32 v12, v60
.LBB25_51:
	s_or_b64 exec, exec, s[36:37]
	v_cmp_gt_u32_e64 s[34:35], 16, v2
	v_lshlrev_b32_e32 v12, 2, v2
	s_waitcnt lgkmcnt(0)
	s_barrier
	s_and_saveexec_b64 s[36:37], s[34:35]
	s_cbranch_execz .LBB25_53
; %bb.52:
	ds_read_b32 v62, v12
	s_waitcnt lgkmcnt(0)
	s_nop 0
	v_mov_b32_dpp v63, v62 row_shr:1 row_mask:0xf bank_mask:0xf
	v_cndmask_b32_e64 v63, v63, 0, s[24:25]
	v_add_u32_e32 v62, v63, v62
	s_nop 1
	v_mov_b32_dpp v63, v62 row_shr:2 row_mask:0xf bank_mask:0xf
	v_cndmask_b32_e64 v63, 0, v63, s[26:27]
	v_add_u32_e32 v62, v62, v63
	;; [unrolled: 4-line block ×4, first 2 shown]
	ds_write_b32 v12, v62
.LBB25_53:
	s_or_b64 exec, exec, s[36:37]
	v_cmp_lt_u32_e64 s[24:25], 63, v2
	v_mov_b32_e32 v62, 0
	s_waitcnt lgkmcnt(0)
	s_barrier
	s_and_saveexec_b64 s[26:27], s[24:25]
	s_cbranch_execz .LBB25_55
; %bb.54:
	v_lshl_add_u32 v61, v61, 2, -4
	ds_read_b32 v62, v61
.LBB25_55:
	s_or_b64 exec, exec, s[26:27]
	v_add_u32_e32 v61, -1, v4
	v_and_b32_e32 v63, 64, v4
	v_cmp_lt_i32_e64 s[24:25], v61, v63
	s_waitcnt lgkmcnt(0)
	v_add_u32_e32 v60, v62, v60
	v_cndmask_b32_e64 v61, v61, v4, s[24:25]
	v_lshlrev_b32_e32 v61, 2, v61
	ds_bpermute_b32 v60, v61, v60
	v_cmp_eq_u32_e64 s[24:25], 0, v4
	s_waitcnt lgkmcnt(0)
	s_nop 0
	v_cndmask_b32_e64 v60, v60, v62, s[24:25]
	v_cmp_ne_u32_e64 s[24:25], 0, v2
	s_nop 1
	v_cndmask_b32_e64 v60, 0, v60, s[24:25]
	v_add_u32_e32 v10, v60, v10
	v_add_u32_e32 v11, v10, v11
	;; [unrolled: 1-line block ×4, first 2 shown]
	ds_write2_b32 v7, v60, v10 offset0:16 offset1:17
	ds_write2_b32 v58, v11, v8 offset0:2 offset1:3
	ds_write_b32 v58, v9 offset:16
	s_waitcnt lgkmcnt(0)
	s_barrier
	ds_read_b32 v9, v16 offset:64
	ds_read_b32 v11, v17 offset:64
	;; [unrolled: 1-line block ×12, first 2 shown]
	s_movk_i32 s24, 0x100
	v_cmp_gt_u32_e64 s[24:25], s24, v2
                                        ; implicit-def: $vgpr8
                                        ; implicit-def: $vgpr10
	s_and_saveexec_b64 s[28:29], s[24:25]
	s_cbranch_execz .LBB25_59
; %bb.56:
	v_mul_u32_u24_e32 v7, 17, v2
	v_lshlrev_b32_e32 v10, 2, v7
	ds_read_b32 v8, v10 offset:64
	s_movk_i32 s26, 0xff
	v_cmp_ne_u32_e64 s[26:27], s26, v2
	v_mov_b32_e32 v7, 0x3000
	s_and_saveexec_b64 s[30:31], s[26:27]
	s_cbranch_execz .LBB25_58
; %bb.57:
	ds_read_b32 v7, v10 offset:132
.LBB25_58:
	s_or_b64 exec, exec, s[30:31]
	s_waitcnt lgkmcnt(0)
	v_sub_u32_e32 v10, v7, v8
.LBB25_59:
	s_or_b64 exec, exec, s[28:29]
	s_waitcnt lgkmcnt(11)
	v_add_u32_e32 v9, v9, v14
	s_waitcnt lgkmcnt(10)
	v_add3_u32 v11, v19, v15, v11
	v_lshlrev_b32_e32 v14, 2, v9
	s_waitcnt lgkmcnt(9)
	v_add3_u32 v21, v24, v20, v16
	s_waitcnt lgkmcnt(0)
	s_barrier
	ds_write_b32 v14, v3 offset:2048
	v_lshlrev_b32_e32 v3, 2, v11
	v_add3_u32 v25, v30, v25, v17
	ds_write_b32 v3, v13 offset:2048
	v_lshlrev_b32_e32 v3, 2, v21
	v_add3_u32 v27, v35, v31, v22
	;; [unrolled: 3-line block ×9, first 2 shown]
	ds_write_b32 v3, v49 offset:2048
	v_lshlrev_b32_e32 v3, 2, v36
	v_mov_b32_e32 v7, v5
	ds_write_b32 v3, v52 offset:2048
	v_lshlrev_b32_e32 v3, 2, v37
	ds_write_b32 v3, v55 offset:2048
	s_waitcnt lgkmcnt(0)
	s_barrier
	s_and_saveexec_b64 s[28:29], s[24:25]
	s_cbranch_execz .LBB25_69
; %bb.60:
	v_lshl_or_b32 v16, s2, 8, v2
	v_mov_b32_e32 v17, 0
	v_lshl_add_u64 v[14:15], v[16:17], 2, s[72:73]
	v_or_b32_e32 v3, 2.0, v10
	global_store_dword v[14:15], v3, off sc1
	s_mov_b64 s[30:31], 0
	s_brev_b32 s38, 1
	s_mov_b32 s39, s2
	v_mov_b32_e32 v3, 0
                                        ; implicit-def: $sgpr26_sgpr27
	s_branch .LBB25_62
.LBB25_61:                              ;   in Loop: Header=BB25_62 Depth=1
	s_or_b64 exec, exec, s[34:35]
	v_and_b32_e32 v16, 0x3fffffff, v16
	v_add_u32_e32 v3, v16, v3
	v_cmp_eq_u32_e64 s[26:27], s38, v13
	s_and_b64 s[34:35], exec, s[26:27]
	s_or_b64 s[30:31], s[34:35], s[30:31]
	s_andn2_b64 exec, exec, s[30:31]
	s_cbranch_execz .LBB25_68
.LBB25_62:                              ; =>This Loop Header: Depth=1
                                        ;     Child Loop BB25_65 Depth 2
	s_or_b64 s[26:27], s[26:27], exec
	s_cmp_eq_u32 s39, 0
	s_cbranch_scc1 .LBB25_67
; %bb.63:                               ;   in Loop: Header=BB25_62 Depth=1
	s_add_i32 s39, s39, -1
	v_lshl_or_b32 v16, s39, 8, v2
	v_lshl_add_u64 v[18:19], v[16:17], 2, s[72:73]
	global_load_dword v16, v[18:19], off sc1
	s_waitcnt vmcnt(0)
	v_and_b32_e32 v13, -2.0, v16
	v_cmp_eq_u32_e64 s[26:27], 0, v13
	s_and_saveexec_b64 s[34:35], s[26:27]
	s_cbranch_execz .LBB25_61
; %bb.64:                               ;   in Loop: Header=BB25_62 Depth=1
	s_mov_b64 s[36:37], 0
.LBB25_65:                              ;   Parent Loop BB25_62 Depth=1
                                        ; =>  This Inner Loop Header: Depth=2
	global_load_dword v16, v[18:19], off sc1
	s_waitcnt vmcnt(0)
	v_and_b32_e32 v13, -2.0, v16
	v_cmp_ne_u32_e64 s[26:27], 0, v13
	s_or_b64 s[36:37], s[26:27], s[36:37]
	s_andn2_b64 exec, exec, s[36:37]
	s_cbranch_execnz .LBB25_65
; %bb.66:                               ;   in Loop: Header=BB25_62 Depth=1
	s_or_b64 exec, exec, s[36:37]
	s_branch .LBB25_61
.LBB25_67:                              ;   in Loop: Header=BB25_62 Depth=1
                                        ; implicit-def: $sgpr39
	s_and_b64 s[34:35], exec, s[26:27]
	s_or_b64 s[30:31], s[34:35], s[30:31]
	s_andn2_b64 exec, exec, s[30:31]
	s_cbranch_execnz .LBB25_62
.LBB25_68:
	s_or_b64 exec, exec, s[30:31]
	v_add_u32_e32 v13, v3, v10
	v_or_b32_e32 v13, 0x80000000, v13
	global_store_dword v[14:15], v13, off sc1
	v_lshlrev_b32_e32 v13, 3, v2
	global_load_dwordx2 v[14:15], v13, s[64:65]
	v_sub_co_u32_e64 v16, s[26:27], v3, v8
	s_nop 1
	v_subb_co_u32_e64 v17, s[26:27], 0, 0, s[26:27]
	s_waitcnt vmcnt(0)
	v_lshl_add_u64 v[14:15], v[16:17], 0, v[14:15]
	ds_write_b64 v13, v[14:15]
.LBB25_69:
	s_or_b64 exec, exec, s[28:29]
	v_cmp_gt_u32_e64 s[26:27], s55, v2
	s_waitcnt lgkmcnt(0)
	s_barrier
	s_and_saveexec_b64 s[28:29], s[26:27]
	s_cbranch_execz .LBB25_71
; %bb.70:
	ds_read_b32 v3, v12 offset:2048
	s_waitcnt lgkmcnt(0)
	v_lshrrev_b32_e32 v13, s68, v3
	v_and_b32_e32 v13, s33, v13
	v_lshlrev_b32_e32 v13, 3, v13
	ds_read_b64 v[14:15], v13
	v_mov_b32_e32 v13, 0
	v_xor_b32_e32 v3, 0x80000000, v3
	s_waitcnt lgkmcnt(0)
	v_lshl_add_u64 v[14:15], v[14:15], 2, s[58:59]
	v_lshl_add_u64 v[14:15], v[14:15], 0, v[12:13]
	global_store_dword v[14:15], v3, off
.LBB25_71:
	s_or_b64 exec, exec, s[28:29]
	v_or_b32_e32 v3, 0x400, v2
	v_cmp_gt_u32_e64 s[28:29], s55, v3
	s_and_saveexec_b64 s[30:31], s[28:29]
	s_cbranch_execz .LBB25_73
; %bb.72:
	ds_read_b32 v13, v12 offset:6144
	v_lshlrev_b32_e32 v16, 2, v3
	v_mov_b32_e32 v17, 0
	s_waitcnt lgkmcnt(0)
	v_lshrrev_b32_e32 v14, s68, v13
	v_and_b32_e32 v14, s33, v14
	v_lshlrev_b32_e32 v14, 3, v14
	ds_read_b64 v[14:15], v14
	v_xor_b32_e32 v3, 0x80000000, v13
	s_waitcnt lgkmcnt(0)
	v_lshl_add_u64 v[14:15], v[14:15], 2, s[58:59]
	v_lshl_add_u64 v[14:15], v[14:15], 0, v[16:17]
	global_store_dword v[14:15], v3, off
.LBB25_73:
	s_or_b64 exec, exec, s[30:31]
	v_or_b32_e32 v3, 0x800, v2
	v_cmp_gt_u32_e64 s[30:31], s55, v3
	s_and_saveexec_b64 s[34:35], s[30:31]
	s_cbranch_execz .LBB25_75
; %bb.74:
	ds_read_b32 v13, v12 offset:10240
	v_lshlrev_b32_e32 v16, 2, v3
	v_mov_b32_e32 v17, 0
	s_waitcnt lgkmcnt(0)
	v_lshrrev_b32_e32 v14, s68, v13
	v_and_b32_e32 v14, s33, v14
	v_lshlrev_b32_e32 v14, 3, v14
	ds_read_b64 v[14:15], v14
	v_xor_b32_e32 v3, 0x80000000, v13
	s_waitcnt lgkmcnt(0)
	v_lshl_add_u64 v[14:15], v[14:15], 2, s[58:59]
	v_lshl_add_u64 v[14:15], v[14:15], 0, v[16:17]
	global_store_dword v[14:15], v3, off
.LBB25_75:
	s_or_b64 exec, exec, s[34:35]
	v_or_b32_e32 v3, 0xc00, v2
	v_cmp_gt_u32_e64 s[34:35], s55, v3
	s_and_saveexec_b64 s[36:37], s[34:35]
	s_cbranch_execz .LBB25_77
; %bb.76:
	ds_read_b32 v13, v12 offset:14336
	v_lshlrev_b32_e32 v16, 2, v3
	v_mov_b32_e32 v17, 0
	s_waitcnt lgkmcnt(0)
	v_lshrrev_b32_e32 v14, s68, v13
	v_and_b32_e32 v14, s33, v14
	v_lshlrev_b32_e32 v14, 3, v14
	ds_read_b64 v[14:15], v14
	v_xor_b32_e32 v3, 0x80000000, v13
	s_waitcnt lgkmcnt(0)
	v_lshl_add_u64 v[14:15], v[14:15], 2, s[58:59]
	v_lshl_add_u64 v[14:15], v[14:15], 0, v[16:17]
	global_store_dword v[14:15], v3, off
.LBB25_77:
	s_or_b64 exec, exec, s[36:37]
	v_or_b32_e32 v14, 0x1000, v2
	v_cmp_gt_u32_e64 s[36:37], s55, v14
	s_and_saveexec_b64 s[38:39], s[36:37]
	s_cbranch_execz .LBB25_79
; %bb.78:
	ds_read_b32 v3, v12 offset:18432
	v_lshlrev_b32_e32 v18, 2, v14
	v_mov_b32_e32 v19, 0
	s_waitcnt lgkmcnt(0)
	v_lshrrev_b32_e32 v13, s68, v3
	v_and_b32_e32 v13, s33, v13
	v_lshlrev_b32_e32 v13, 3, v13
	ds_read_b64 v[16:17], v13
	v_xor_b32_e32 v3, 0x80000000, v3
	s_waitcnt lgkmcnt(0)
	v_lshl_add_u64 v[16:17], v[16:17], 2, s[58:59]
	v_lshl_add_u64 v[16:17], v[16:17], 0, v[18:19]
	global_store_dword v[16:17], v3, off
.LBB25_79:
	s_or_b64 exec, exec, s[38:39]
	v_or_b32_e32 v16, 0x1400, v2
	v_cmp_gt_u32_e64 s[38:39], s55, v16
	s_and_saveexec_b64 s[40:41], s[38:39]
	s_cbranch_execz .LBB25_81
; %bb.80:
	ds_read_b32 v3, v12 offset:22528
	v_lshlrev_b32_e32 v22, 2, v16
	v_mov_b32_e32 v23, 0
	s_waitcnt lgkmcnt(0)
	v_lshrrev_b32_e32 v13, s68, v3
	v_and_b32_e32 v13, s33, v13
	v_lshlrev_b32_e32 v13, 3, v13
	ds_read_b64 v[18:19], v13
	v_xor_b32_e32 v3, 0x80000000, v3
	s_waitcnt lgkmcnt(0)
	v_lshl_add_u64 v[18:19], v[18:19], 2, s[58:59]
	v_lshl_add_u64 v[18:19], v[18:19], 0, v[22:23]
	global_store_dword v[18:19], v3, off
.LBB25_81:
	s_or_b64 exec, exec, s[40:41]
	v_or_b32_e32 v18, 0x1800, v2
	v_cmp_gt_u32_e64 s[40:41], s55, v18
	s_and_saveexec_b64 s[42:43], s[40:41]
	s_cbranch_execz .LBB25_83
; %bb.82:
	ds_read_b32 v3, v12 offset:26624
	v_lshlrev_b32_e32 v28, 2, v18
	v_mov_b32_e32 v29, 0
	s_waitcnt lgkmcnt(0)
	v_lshrrev_b32_e32 v13, s68, v3
	v_and_b32_e32 v13, s33, v13
	v_lshlrev_b32_e32 v13, 3, v13
	ds_read_b64 v[22:23], v13
	v_xor_b32_e32 v3, 0x80000000, v3
	s_waitcnt lgkmcnt(0)
	v_lshl_add_u64 v[22:23], v[22:23], 2, s[58:59]
	v_lshl_add_u64 v[22:23], v[22:23], 0, v[28:29]
	global_store_dword v[22:23], v3, off
.LBB25_83:
	s_or_b64 exec, exec, s[42:43]
	v_or_b32_e32 v20, 0x1c00, v2
	v_cmp_gt_u32_e64 s[42:43], s55, v20
	s_and_saveexec_b64 s[44:45], s[42:43]
	s_cbranch_execz .LBB25_85
; %bb.84:
	ds_read_b32 v3, v12 offset:30720
	v_lshlrev_b32_e32 v28, 2, v20
	v_mov_b32_e32 v29, 0
	s_waitcnt lgkmcnt(0)
	v_lshrrev_b32_e32 v13, s68, v3
	v_and_b32_e32 v13, s33, v13
	v_lshlrev_b32_e32 v13, 3, v13
	ds_read_b64 v[22:23], v13
	v_xor_b32_e32 v3, 0x80000000, v3
	s_waitcnt lgkmcnt(0)
	v_lshl_add_u64 v[22:23], v[22:23], 2, s[58:59]
	v_lshl_add_u64 v[22:23], v[22:23], 0, v[28:29]
	global_store_dword v[22:23], v3, off
.LBB25_85:
	s_or_b64 exec, exec, s[44:45]
	v_or_b32_e32 v22, 0x2000, v2
	v_cmp_gt_u32_e64 s[44:45], s55, v22
	s_and_saveexec_b64 s[46:47], s[44:45]
	s_cbranch_execz .LBB25_87
; %bb.86:
	ds_read_b32 v3, v12 offset:34816
	v_lshlrev_b32_e32 v38, 2, v22
	v_mov_b32_e32 v39, 0
	s_waitcnt lgkmcnt(0)
	v_lshrrev_b32_e32 v13, s68, v3
	v_and_b32_e32 v13, s33, v13
	v_lshlrev_b32_e32 v13, 3, v13
	ds_read_b64 v[28:29], v13
	v_xor_b32_e32 v3, 0x80000000, v3
	s_waitcnt lgkmcnt(0)
	v_lshl_add_u64 v[28:29], v[28:29], 2, s[58:59]
	v_lshl_add_u64 v[28:29], v[28:29], 0, v[38:39]
	global_store_dword v[28:29], v3, off
.LBB25_87:
	s_or_b64 exec, exec, s[46:47]
	v_or_b32_e32 v24, 0x2400, v2
	v_cmp_gt_u32_e64 s[46:47], s55, v24
	s_and_saveexec_b64 s[48:49], s[46:47]
	s_cbranch_execz .LBB25_89
; %bb.88:
	ds_read_b32 v3, v12 offset:38912
	v_lshlrev_b32_e32 v38, 2, v24
	v_mov_b32_e32 v39, 0
	s_waitcnt lgkmcnt(0)
	v_lshrrev_b32_e32 v13, s68, v3
	v_and_b32_e32 v13, s33, v13
	v_lshlrev_b32_e32 v13, 3, v13
	ds_read_b64 v[28:29], v13
	v_xor_b32_e32 v3, 0x80000000, v3
	s_waitcnt lgkmcnt(0)
	v_lshl_add_u64 v[28:29], v[28:29], 2, s[58:59]
	v_lshl_add_u64 v[28:29], v[28:29], 0, v[38:39]
	global_store_dword v[28:29], v3, off
.LBB25_89:
	s_or_b64 exec, exec, s[48:49]
	v_or_b32_e32 v26, 0x2800, v2
	v_cmp_gt_u32_e64 s[48:49], s55, v26
	s_and_saveexec_b64 s[50:51], s[48:49]
	s_cbranch_execz .LBB25_91
; %bb.90:
	ds_read_b32 v3, v12 offset:43008
	v_lshlrev_b32_e32 v38, 2, v26
	v_mov_b32_e32 v39, 0
	s_waitcnt lgkmcnt(0)
	v_lshrrev_b32_e32 v13, s68, v3
	v_and_b32_e32 v13, s33, v13
	v_lshlrev_b32_e32 v13, 3, v13
	ds_read_b64 v[28:29], v13
	v_xor_b32_e32 v3, 0x80000000, v3
	s_waitcnt lgkmcnt(0)
	v_lshl_add_u64 v[28:29], v[28:29], 2, s[58:59]
	v_lshl_add_u64 v[28:29], v[28:29], 0, v[38:39]
	global_store_dword v[28:29], v3, off
.LBB25_91:
	s_or_b64 exec, exec, s[50:51]
	v_or_b32_e32 v28, 0x2c00, v2
	v_cmp_gt_u32_e64 s[50:51], s55, v28
	s_and_saveexec_b64 s[70:71], s[50:51]
	s_cbranch_execz .LBB25_93
; %bb.92:
	ds_read_b32 v3, v12 offset:47104
	v_lshlrev_b32_e32 v40, 2, v28
	v_mov_b32_e32 v41, 0
	s_waitcnt lgkmcnt(0)
	v_lshrrev_b32_e32 v13, s68, v3
	v_and_b32_e32 v13, s33, v13
	v_lshlrev_b32_e32 v13, 3, v13
	ds_read_b64 v[38:39], v13
	v_xor_b32_e32 v3, 0x80000000, v3
	s_waitcnt lgkmcnt(0)
	v_lshl_add_u64 v[38:39], v[38:39], 2, s[58:59]
	v_lshl_add_u64 v[38:39], v[38:39], 0, v[40:41]
	global_store_dword v[38:39], v3, off
.LBB25_93:
	s_or_b64 exec, exec, s[70:71]
	s_add_u32 s70, s60, s54
	s_addc_u32 s71, s61, 0
	v_lshl_add_u64 v[4:5], s[70:71], 0, v[4:5]
	v_lshl_add_u64 v[4:5], v[4:5], 0, v[6:7]
                                        ; implicit-def: $vgpr3
	s_and_saveexec_b64 s[70:71], vcc
	s_xor_b64 s[70:71], exec, s[70:71]
	s_cbranch_execnz .LBB25_188
; %bb.94:
	s_or_b64 exec, exec, s[70:71]
                                        ; implicit-def: $vgpr6
	s_and_saveexec_b64 s[70:71], s[52:53]
	s_cbranch_execnz .LBB25_189
.LBB25_95:
	s_or_b64 exec, exec, s[70:71]
                                        ; implicit-def: $vgpr7
	s_and_saveexec_b64 s[52:53], s[4:5]
	s_cbranch_execnz .LBB25_190
.LBB25_96:
	s_or_b64 exec, exec, s[52:53]
                                        ; implicit-def: $vgpr13
	s_and_saveexec_b64 s[4:5], s[6:7]
	s_cbranch_execnz .LBB25_191
.LBB25_97:
	s_or_b64 exec, exec, s[4:5]
                                        ; implicit-def: $vgpr15
	s_and_saveexec_b64 s[4:5], s[8:9]
	s_cbranch_execnz .LBB25_192
.LBB25_98:
	s_or_b64 exec, exec, s[4:5]
                                        ; implicit-def: $vgpr17
	s_and_saveexec_b64 s[4:5], s[10:11]
	s_cbranch_execnz .LBB25_193
.LBB25_99:
	s_or_b64 exec, exec, s[4:5]
                                        ; implicit-def: $vgpr19
	s_and_saveexec_b64 s[4:5], s[12:13]
	s_cbranch_execnz .LBB25_194
.LBB25_100:
	s_or_b64 exec, exec, s[4:5]
                                        ; implicit-def: $vgpr23
	s_and_saveexec_b64 s[4:5], s[14:15]
	s_cbranch_execnz .LBB25_195
.LBB25_101:
	s_or_b64 exec, exec, s[4:5]
                                        ; implicit-def: $vgpr38
	s_and_saveexec_b64 s[4:5], s[16:17]
	s_cbranch_execnz .LBB25_196
.LBB25_102:
	s_or_b64 exec, exec, s[4:5]
                                        ; implicit-def: $vgpr41
	s_and_saveexec_b64 s[4:5], s[18:19]
	s_cbranch_execnz .LBB25_197
.LBB25_103:
	s_or_b64 exec, exec, s[4:5]
                                        ; implicit-def: $vgpr44
	s_and_saveexec_b64 s[4:5], s[20:21]
	s_cbranch_execnz .LBB25_198
.LBB25_104:
	s_or_b64 exec, exec, s[4:5]
                                        ; implicit-def: $vgpr48
	s_and_saveexec_b64 s[4:5], s[22:23]
	s_cbranch_execnz .LBB25_199
.LBB25_105:
	s_or_b64 exec, exec, s[4:5]
                                        ; implicit-def: $vgpr49
	s_and_saveexec_b64 s[4:5], s[26:27]
	s_cbranch_execnz .LBB25_200
.LBB25_106:
	s_or_b64 exec, exec, s[4:5]
                                        ; implicit-def: $vgpr47
	s_and_saveexec_b64 s[4:5], s[28:29]
	s_cbranch_execnz .LBB25_201
.LBB25_107:
	s_or_b64 exec, exec, s[4:5]
                                        ; implicit-def: $vgpr46
	s_and_saveexec_b64 s[4:5], s[30:31]
	s_cbranch_execnz .LBB25_202
.LBB25_108:
	s_or_b64 exec, exec, s[4:5]
                                        ; implicit-def: $vgpr45
	s_and_saveexec_b64 s[4:5], s[34:35]
	s_cbranch_execnz .LBB25_203
.LBB25_109:
	s_or_b64 exec, exec, s[4:5]
                                        ; implicit-def: $vgpr43
	s_and_saveexec_b64 s[4:5], s[36:37]
	s_cbranch_execnz .LBB25_204
.LBB25_110:
	s_or_b64 exec, exec, s[4:5]
                                        ; implicit-def: $vgpr42
	s_and_saveexec_b64 s[4:5], s[38:39]
	s_cbranch_execnz .LBB25_205
.LBB25_111:
	s_or_b64 exec, exec, s[4:5]
                                        ; implicit-def: $vgpr40
	s_and_saveexec_b64 s[4:5], s[40:41]
	s_cbranch_execnz .LBB25_206
.LBB25_112:
	s_or_b64 exec, exec, s[4:5]
                                        ; implicit-def: $vgpr39
	s_and_saveexec_b64 s[4:5], s[42:43]
	s_cbranch_execnz .LBB25_207
.LBB25_113:
	s_or_b64 exec, exec, s[4:5]
                                        ; implicit-def: $vgpr34
	s_and_saveexec_b64 s[4:5], s[44:45]
	s_cbranch_execz .LBB25_115
.LBB25_114:
	ds_read_b32 v4, v12 offset:34816
	s_waitcnt lgkmcnt(0)
	v_lshrrev_b32_e32 v4, s68, v4
	v_and_b32_e32 v34, s33, v4
.LBB25_115:
	s_or_b64 exec, exec, s[4:5]
	v_mov_b32_e32 v4, 0
	v_mov_b32_e32 v29, 0
	s_and_saveexec_b64 s[4:5], s[46:47]
	s_cbranch_execnz .LBB25_208
; %bb.116:
	s_or_b64 exec, exec, s[4:5]
	s_and_saveexec_b64 s[4:5], s[48:49]
	s_cbranch_execnz .LBB25_209
.LBB25_117:
	s_or_b64 exec, exec, s[4:5]
	v_mov_b32_e32 v5, 0
	s_and_saveexec_b64 s[4:5], s[50:51]
	s_cbranch_execz .LBB25_119
.LBB25_118:
	ds_read_b32 v5, v12 offset:47104
	s_waitcnt lgkmcnt(0)
	v_lshrrev_b32_e32 v5, s68, v5
	v_and_b32_e32 v5, s33, v5
.LBB25_119:
	s_or_b64 exec, exec, s[4:5]
	s_barrier
	s_waitcnt vmcnt(0)
	ds_write_b8 v9, v3 offset:2048
	ds_write_b8 v11, v6 offset:2048
	;; [unrolled: 1-line block ×12, first 2 shown]
	s_waitcnt lgkmcnt(0)
	s_barrier
	s_and_saveexec_b64 s[4:5], s[26:27]
	s_cbranch_execnz .LBB25_210
; %bb.120:
	s_or_b64 exec, exec, s[4:5]
	s_and_saveexec_b64 s[4:5], s[28:29]
	s_cbranch_execnz .LBB25_211
.LBB25_121:
	s_or_b64 exec, exec, s[4:5]
	s_and_saveexec_b64 s[4:5], s[30:31]
	s_cbranch_execnz .LBB25_212
.LBB25_122:
	s_or_b64 exec, exec, s[4:5]
	s_and_saveexec_b64 s[4:5], s[34:35]
	s_cbranch_execnz .LBB25_213
.LBB25_123:
	s_or_b64 exec, exec, s[4:5]
	s_and_saveexec_b64 s[4:5], s[36:37]
	s_cbranch_execnz .LBB25_214
.LBB25_124:
	s_or_b64 exec, exec, s[4:5]
	s_and_saveexec_b64 s[4:5], s[38:39]
	s_cbranch_execnz .LBB25_215
.LBB25_125:
	s_or_b64 exec, exec, s[4:5]
	s_and_saveexec_b64 s[4:5], s[40:41]
	s_cbranch_execnz .LBB25_216
.LBB25_126:
	s_or_b64 exec, exec, s[4:5]
	s_and_saveexec_b64 s[4:5], s[42:43]
	s_cbranch_execnz .LBB25_217
.LBB25_127:
	s_or_b64 exec, exec, s[4:5]
	s_and_saveexec_b64 s[4:5], s[44:45]
	s_cbranch_execnz .LBB25_218
.LBB25_128:
	s_or_b64 exec, exec, s[4:5]
	s_and_saveexec_b64 s[4:5], s[46:47]
	s_cbranch_execnz .LBB25_219
.LBB25_129:
	s_or_b64 exec, exec, s[4:5]
	s_and_saveexec_b64 s[4:5], s[48:49]
	s_cbranch_execnz .LBB25_220
.LBB25_130:
	s_or_b64 exec, exec, s[4:5]
	s_and_saveexec_b64 s[4:5], s[50:51]
	s_cbranch_execz .LBB25_132
.LBB25_131:
	v_lshlrev_b32_e32 v3, 3, v5
	ds_read_b64 v[4:5], v3
	ds_read_u8 v3, v2 offset:13312
	v_mov_b32_e32 v29, 0
	s_waitcnt lgkmcnt(1)
	v_lshl_add_u64 v[4:5], s[62:63], 0, v[4:5]
	v_lshl_add_u64 v[4:5], v[4:5], 0, v[28:29]
	s_waitcnt lgkmcnt(0)
	global_store_byte v[4:5], v3, off
.LBB25_132:
	s_or_b64 exec, exec, s[4:5]
	s_add_i32 s3, s3, -1
	s_cmp_eq_u32 s2, s3
	s_cselect_b64 s[4:5], -1, 0
	s_and_b64 s[6:7], s[24:25], s[4:5]
	s_mov_b64 s[4:5], 0
	s_mov_b64 s[10:11], 0
                                        ; implicit-def: $vgpr4_vgpr5
	s_and_saveexec_b64 s[8:9], s[6:7]
	s_xor_b64 s[6:7], exec, s[8:9]
; %bb.133:
	v_mov_b32_e32 v9, 0
	v_mov_b32_e32 v11, v9
	s_mov_b64 s[10:11], exec
	v_lshl_add_u64 v[4:5], v[8:9], 0, v[10:11]
	v_mov_b32_e32 v3, v9
; %bb.134:
	s_or_b64 exec, exec, s[6:7]
	s_and_b64 vcc, exec, s[4:5]
	s_cbranch_vccnz .LBB25_136
	s_branch .LBB25_185
.LBB25_135:
	s_mov_b64 s[10:11], 0
                                        ; implicit-def: $vgpr4_vgpr5
                                        ; implicit-def: $vgpr2_vgpr3
	s_cbranch_execz .LBB25_185
.LBB25_136:
	s_mov_b32 s55, 0
	s_lshl_b64 s[4:5], s[54:55], 2
	s_add_u32 s4, s56, s4
	v_mov_b32_e32 v5, 0
	v_mbcnt_hi_u32_b32 v4, -1, v1
	s_addc_u32 s5, s57, s5
	v_lshlrev_b32_e32 v8, 2, v4
	v_mov_b32_e32 v9, v5
	v_lshl_add_u64 v[8:9], s[4:5], 0, v[8:9]
	s_load_dword s4, s[0:1], 0x5c
	s_load_dword s3, s[0:1], 0x50
	v_and_b32_e32 v2, 0x3ff, v0
	v_and_b32_e32 v1, 0x3c0, v2
	v_mul_u32_u24_e32 v6, 12, v1
	v_lshlrev_b32_e32 v10, 2, v6
	v_mov_b32_e32 v11, v5
	s_add_u32 s0, s0, 0x50
	v_lshl_add_u64 v[10:11], v[8:9], 0, v[10:11]
	s_addc_u32 s1, s1, 0
	s_waitcnt lgkmcnt(0)
	s_lshr_b32 s4, s4, 16
	global_load_dword v3, v[10:11], off
	s_cmp_lt_u32 s2, s3
	s_cselect_b32 s5, 12, 18
	s_add_u32 s0, s0, s5
	s_addc_u32 s1, s1, 0
	global_load_ushort v18, v5, s[0:1]
	v_mul_u32_u24_e32 v7, 5, v2
	v_lshlrev_b32_e32 v7, 2, v7
	ds_write2_b32 v7, v5, v5 offset0:16 offset1:17
	ds_write2_b32 v7, v5, v5 offset0:18 offset1:19
	ds_write_b32 v7, v5 offset:80
	global_load_dword v9, v[10:11], off offset:256
	global_load_dword v8, v[10:11], off offset:512
	;; [unrolled: 1-line block ×11, first 2 shown]
	v_bfe_u32 v13, v0, 10, 10
	v_bfe_u32 v0, v0, 20, 10
	s_lshl_b32 s0, -1, s69
	v_mad_u32_u24 v10, v0, s4, v13
	s_not_b32 s14, s0
	v_mov_b32_e32 v1, v5
	v_mov_b32_e32 v12, v5
	;; [unrolled: 1-line block ×5, first 2 shown]
	s_waitcnt lgkmcnt(0)
	s_barrier
	s_waitcnt lgkmcnt(0)
	; wave barrier
	s_waitcnt vmcnt(12)
	v_xor_b32_e32 v3, 0x80000000, v3
	v_lshrrev_b32_e32 v0, s68, v3
	v_and_b32_e32 v24, s14, v0
	v_and_b32_e32 v0, 1, v24
	v_lshlrev_b32_e32 v13, 30, v24
	v_lshlrev_b32_e32 v15, 29, v24
	s_waitcnt vmcnt(11)
	v_mad_u64_u32 v[10:11], s[0:1], v10, v18, v[2:3]
	v_lshl_add_u64 v[28:29], v[0:1], 0, -1
	v_cmp_ne_u32_e32 vcc, 0, v0
	v_not_b32_e32 v0, v13
	v_lshlrev_b32_e32 v17, 28, v24
	v_cmp_gt_i64_e64 s[0:1], 0, v[12:13]
	v_not_b32_e32 v1, v15
	v_lshrrev_b32_e32 v20, 6, v10
	v_xor_b32_e32 v10, vcc_hi, v29
	v_ashrrev_i32_e32 v0, 31, v0
	v_cmp_gt_i64_e64 s[4:5], 0, v[14:15]
	v_not_b32_e32 v11, v17
	v_xor_b32_e32 v13, vcc_lo, v28
	v_ashrrev_i32_e32 v1, 31, v1
	v_and_b32_e32 v10, exec_hi, v10
	v_xor_b32_e32 v14, s1, v0
	v_cmp_gt_i64_e64 s[6:7], 0, v[16:17]
	v_ashrrev_i32_e32 v11, 31, v11
	v_and_b32_e32 v13, exec_lo, v13
	v_xor_b32_e32 v0, s0, v0
	v_xor_b32_e32 v15, s5, v1
	v_and_b32_e32 v10, v10, v14
	v_lshlrev_b32_e32 v23, 27, v24
	v_xor_b32_e32 v1, s4, v1
	v_xor_b32_e32 v16, s7, v11
	v_and_b32_e32 v0, v13, v0
	v_and_b32_e32 v10, v10, v15
	;; [unrolled: 1-line block ×4, first 2 shown]
	v_not_b32_e32 v10, v23
	v_cmp_gt_i64_e64 s[8:9], 0, v[22:23]
	v_xor_b32_e32 v11, s6, v11
	v_ashrrev_i32_e32 v10, 31, v10
	v_and_b32_e32 v0, v0, v11
	v_xor_b32_e32 v11, s9, v10
	v_xor_b32_e32 v10, s8, v10
	v_and_b32_e32 v11, v1, v11
	v_and_b32_e32 v10, v0, v10
	v_lshlrev_b32_e32 v1, 26, v24
	v_mov_b32_e32 v0, v5
	v_cmp_gt_i64_e32 vcc, 0, v[0:1]
	v_not_b32_e32 v0, v1
	v_ashrrev_i32_e32 v0, 31, v0
	v_xor_b32_e32 v1, vcc_hi, v0
	v_xor_b32_e32 v0, vcc_lo, v0
	v_and_b32_e32 v11, v11, v1
	v_and_b32_e32 v10, v10, v0
	v_lshlrev_b32_e32 v1, 25, v24
	v_mov_b32_e32 v0, v5
	v_cmp_gt_i64_e32 vcc, 0, v[0:1]
	v_not_b32_e32 v0, v1
	v_ashrrev_i32_e32 v0, 31, v0
	v_xor_b32_e32 v1, vcc_hi, v0
	v_xor_b32_e32 v0, vcc_lo, v0
	;; [unrolled: 9-line block ×3, first 2 shown]
	v_and_b32_e32 v0, v10, v0
	v_and_b32_e32 v1, v11, v1
	v_mbcnt_lo_u32_b32 v10, v0, 0
	v_mbcnt_hi_u32_b32 v11, v1, v10
	v_lshl_add_u32 v27, v24, 4, v24
	v_cmp_eq_u32_e32 vcc, 0, v11
	v_cmp_ne_u64_e64 s[0:1], 0, v[0:1]
	v_add_lshl_u32 v12, v20, v27, 2
	s_and_b64 s[4:5], s[0:1], vcc
	s_and_saveexec_b64 s[0:1], s[4:5]
	s_cbranch_execz .LBB25_138
; %bb.137:
	v_bcnt_u32_b32 v0, v0, 0
	v_bcnt_u32_b32 v0, v1, v0
	ds_write_b32 v12, v0 offset:64
.LBB25_138:
	s_or_b64 exec, exec, s[0:1]
	s_waitcnt vmcnt(10)
	v_xor_b32_e32 v10, 0x80000000, v9
	v_lshrrev_b32_e32 v0, s68, v10
	v_and_b32_e32 v9, s14, v0
	v_lshl_add_u32 v0, v9, 4, v9
	v_add_lshl_u32 v14, v20, v0, 2
	v_and_b32_e32 v0, 1, v9
	v_mov_b32_e32 v1, v5
	v_lshl_add_u64 v[16:17], v[0:1], 0, -1
	v_cmp_ne_u32_e32 vcc, 0, v0
	; wave barrier
	s_nop 1
	v_xor_b32_e32 v0, vcc_hi, v17
	v_xor_b32_e32 v1, vcc_lo, v16
	v_and_b32_e32 v15, exec_hi, v0
	v_and_b32_e32 v16, exec_lo, v1
	v_lshlrev_b32_e32 v1, 30, v9
	v_mov_b32_e32 v0, v5
	v_cmp_gt_i64_e32 vcc, 0, v[0:1]
	v_not_b32_e32 v0, v1
	v_ashrrev_i32_e32 v0, 31, v0
	v_xor_b32_e32 v1, vcc_hi, v0
	v_xor_b32_e32 v0, vcc_lo, v0
	v_and_b32_e32 v15, v15, v1
	v_and_b32_e32 v16, v16, v0
	v_lshlrev_b32_e32 v1, 29, v9
	v_mov_b32_e32 v0, v5
	v_cmp_gt_i64_e32 vcc, 0, v[0:1]
	v_not_b32_e32 v0, v1
	v_ashrrev_i32_e32 v0, 31, v0
	v_xor_b32_e32 v1, vcc_hi, v0
	v_xor_b32_e32 v0, vcc_lo, v0
	v_and_b32_e32 v15, v15, v1
	v_and_b32_e32 v16, v16, v0
	;; [unrolled: 9-line block ×6, first 2 shown]
	v_lshlrev_b32_e32 v1, 24, v9
	v_mov_b32_e32 v0, v5
	v_cmp_gt_i64_e32 vcc, 0, v[0:1]
	v_not_b32_e32 v0, v1
	v_ashrrev_i32_e32 v0, 31, v0
	v_xor_b32_e32 v1, vcc_hi, v0
	v_xor_b32_e32 v0, vcc_lo, v0
	ds_read_b32 v13, v14 offset:64
	v_and_b32_e32 v0, v16, v0
	v_and_b32_e32 v1, v15, v1
	v_mbcnt_lo_u32_b32 v9, v0, 0
	v_mbcnt_hi_u32_b32 v16, v1, v9
	v_cmp_eq_u32_e32 vcc, 0, v16
	v_cmp_ne_u64_e64 s[0:1], 0, v[0:1]
	s_and_b64 s[4:5], s[0:1], vcc
	; wave barrier
	s_and_saveexec_b64 s[0:1], s[4:5]
	s_cbranch_execz .LBB25_140
; %bb.139:
	v_bcnt_u32_b32 v0, v0, 0
	v_bcnt_u32_b32 v0, v1, v0
	s_waitcnt lgkmcnt(0)
	v_add_u32_e32 v0, v13, v0
	ds_write_b32 v14, v0 offset:64
.LBB25_140:
	s_or_b64 exec, exec, s[0:1]
	s_waitcnt vmcnt(9)
	v_xor_b32_e32 v15, 0x80000000, v8
	v_lshrrev_b32_e32 v0, s68, v15
	v_and_b32_e32 v22, s14, v0
	v_lshl_add_u32 v0, v22, 4, v22
	v_add_lshl_u32 v18, v20, v0, 2
	v_and_b32_e32 v0, 1, v22
	v_mov_b32_e32 v1, 0
	v_lshl_add_u64 v[8:9], v[0:1], 0, -1
	v_cmp_ne_u32_e32 vcc, 0, v0
	; wave barrier
	s_nop 1
	v_xor_b32_e32 v8, vcc_lo, v8
	v_xor_b32_e32 v0, vcc_hi, v9
	v_and_b32_e32 v23, exec_lo, v8
	v_lshlrev_b32_e32 v9, 30, v22
	v_mov_b32_e32 v8, v1
	v_cmp_gt_i64_e32 vcc, 0, v[8:9]
	v_not_b32_e32 v8, v9
	v_ashrrev_i32_e32 v8, 31, v8
	v_and_b32_e32 v0, exec_hi, v0
	v_xor_b32_e32 v9, vcc_hi, v8
	v_xor_b32_e32 v8, vcc_lo, v8
	v_and_b32_e32 v0, v0, v9
	v_and_b32_e32 v23, v23, v8
	v_lshlrev_b32_e32 v9, 29, v22
	v_mov_b32_e32 v8, v1
	v_cmp_gt_i64_e32 vcc, 0, v[8:9]
	v_not_b32_e32 v8, v9
	v_ashrrev_i32_e32 v8, 31, v8
	v_xor_b32_e32 v9, vcc_hi, v8
	v_xor_b32_e32 v8, vcc_lo, v8
	v_and_b32_e32 v0, v0, v9
	v_and_b32_e32 v23, v23, v8
	v_lshlrev_b32_e32 v9, 28, v22
	v_mov_b32_e32 v8, v1
	v_cmp_gt_i64_e32 vcc, 0, v[8:9]
	v_not_b32_e32 v8, v9
	v_ashrrev_i32_e32 v8, 31, v8
	;; [unrolled: 9-line block ×6, first 2 shown]
	v_xor_b32_e32 v9, vcc_hi, v8
	v_xor_b32_e32 v8, vcc_lo, v8
	ds_read_b32 v17, v18 offset:64
	v_and_b32_e32 v8, v23, v8
	v_and_b32_e32 v9, v0, v9
	v_mbcnt_lo_u32_b32 v0, v8, 0
	v_mbcnt_hi_u32_b32 v22, v9, v0
	v_cmp_eq_u32_e32 vcc, 0, v22
	v_cmp_ne_u64_e64 s[0:1], 0, v[8:9]
	s_and_b64 s[4:5], s[0:1], vcc
	; wave barrier
	s_and_saveexec_b64 s[0:1], s[4:5]
	s_cbranch_execz .LBB25_142
; %bb.141:
	v_bcnt_u32_b32 v0, v8, 0
	v_bcnt_u32_b32 v0, v9, v0
	s_waitcnt lgkmcnt(0)
	v_add_u32_e32 v0, v17, v0
	ds_write_b32 v18, v0 offset:64
.LBB25_142:
	s_or_b64 exec, exec, s[0:1]
	s_waitcnt vmcnt(8)
	v_xor_b32_e32 v21, 0x80000000, v21
	v_lshrrev_b32_e32 v0, s68, v21
	v_and_b32_e32 v27, s14, v0
	v_lshl_add_u32 v0, v27, 4, v27
	v_add_lshl_u32 v24, v20, v0, 2
	v_and_b32_e32 v0, 1, v27
	v_lshl_add_u64 v[8:9], v[0:1], 0, -1
	v_cmp_ne_u32_e32 vcc, 0, v0
	; wave barrier
	s_nop 1
	v_xor_b32_e32 v8, vcc_lo, v8
	v_xor_b32_e32 v0, vcc_hi, v9
	v_and_b32_e32 v28, exec_lo, v8
	v_lshlrev_b32_e32 v9, 30, v27
	v_mov_b32_e32 v8, v1
	v_cmp_gt_i64_e32 vcc, 0, v[8:9]
	v_not_b32_e32 v8, v9
	v_ashrrev_i32_e32 v8, 31, v8
	v_and_b32_e32 v0, exec_hi, v0
	v_xor_b32_e32 v9, vcc_hi, v8
	v_xor_b32_e32 v8, vcc_lo, v8
	v_and_b32_e32 v0, v0, v9
	v_and_b32_e32 v28, v28, v8
	v_lshlrev_b32_e32 v9, 29, v27
	v_mov_b32_e32 v8, v1
	v_cmp_gt_i64_e32 vcc, 0, v[8:9]
	v_not_b32_e32 v8, v9
	v_ashrrev_i32_e32 v8, 31, v8
	v_xor_b32_e32 v9, vcc_hi, v8
	v_xor_b32_e32 v8, vcc_lo, v8
	v_and_b32_e32 v0, v0, v9
	v_and_b32_e32 v28, v28, v8
	v_lshlrev_b32_e32 v9, 28, v27
	v_mov_b32_e32 v8, v1
	v_cmp_gt_i64_e32 vcc, 0, v[8:9]
	v_not_b32_e32 v8, v9
	v_ashrrev_i32_e32 v8, 31, v8
	;; [unrolled: 9-line block ×5, first 2 shown]
	v_xor_b32_e32 v9, vcc_hi, v8
	v_xor_b32_e32 v8, vcc_lo, v8
	v_and_b32_e32 v0, v0, v9
	v_lshlrev_b32_e32 v9, 24, v27
	v_and_b32_e32 v28, v28, v8
	v_mov_b32_e32 v8, v1
	v_not_b32_e32 v1, v9
	v_cmp_gt_i64_e32 vcc, 0, v[8:9]
	v_ashrrev_i32_e32 v1, 31, v1
	ds_read_b32 v23, v24 offset:64
	v_xor_b32_e32 v8, vcc_hi, v1
	v_xor_b32_e32 v9, vcc_lo, v1
	v_and_b32_e32 v1, v0, v8
	v_and_b32_e32 v0, v28, v9
	v_mbcnt_lo_u32_b32 v8, v0, 0
	v_mbcnt_hi_u32_b32 v27, v1, v8
	v_cmp_eq_u32_e32 vcc, 0, v27
	v_cmp_ne_u64_e64 s[0:1], 0, v[0:1]
	s_and_b64 s[4:5], s[0:1], vcc
	; wave barrier
	s_and_saveexec_b64 s[0:1], s[4:5]
	s_cbranch_execz .LBB25_144
; %bb.143:
	v_bcnt_u32_b32 v0, v0, 0
	v_bcnt_u32_b32 v0, v1, v0
	s_waitcnt lgkmcnt(0)
	v_add_u32_e32 v0, v23, v0
	ds_write_b32 v24, v0 offset:64
.LBB25_144:
	s_or_b64 exec, exec, s[0:1]
	s_waitcnt vmcnt(7)
	v_xor_b32_e32 v26, 0x80000000, v26
	v_lshrrev_b32_e32 v0, s68, v26
	v_and_b32_e32 v32, s14, v0
	v_lshl_add_u32 v0, v32, 4, v32
	v_add_lshl_u32 v29, v20, v0, 2
	v_and_b32_e32 v0, 1, v32
	v_mov_b32_e32 v1, 0
	v_lshl_add_u64 v[8:9], v[0:1], 0, -1
	v_cmp_ne_u32_e32 vcc, 0, v0
	; wave barrier
	s_nop 1
	v_xor_b32_e32 v8, vcc_lo, v8
	v_xor_b32_e32 v0, vcc_hi, v9
	v_and_b32_e32 v33, exec_lo, v8
	v_lshlrev_b32_e32 v9, 30, v32
	v_mov_b32_e32 v8, v1
	v_cmp_gt_i64_e32 vcc, 0, v[8:9]
	v_not_b32_e32 v8, v9
	v_ashrrev_i32_e32 v8, 31, v8
	v_and_b32_e32 v0, exec_hi, v0
	v_xor_b32_e32 v9, vcc_hi, v8
	v_xor_b32_e32 v8, vcc_lo, v8
	v_and_b32_e32 v0, v0, v9
	v_and_b32_e32 v33, v33, v8
	v_lshlrev_b32_e32 v9, 29, v32
	v_mov_b32_e32 v8, v1
	v_cmp_gt_i64_e32 vcc, 0, v[8:9]
	v_not_b32_e32 v8, v9
	v_ashrrev_i32_e32 v8, 31, v8
	v_xor_b32_e32 v9, vcc_hi, v8
	v_xor_b32_e32 v8, vcc_lo, v8
	v_and_b32_e32 v0, v0, v9
	v_and_b32_e32 v33, v33, v8
	v_lshlrev_b32_e32 v9, 28, v32
	v_mov_b32_e32 v8, v1
	v_cmp_gt_i64_e32 vcc, 0, v[8:9]
	v_not_b32_e32 v8, v9
	v_ashrrev_i32_e32 v8, 31, v8
	;; [unrolled: 9-line block ×6, first 2 shown]
	v_xor_b32_e32 v9, vcc_hi, v8
	v_xor_b32_e32 v8, vcc_lo, v8
	ds_read_b32 v28, v29 offset:64
	v_and_b32_e32 v8, v33, v8
	v_and_b32_e32 v9, v0, v9
	v_mbcnt_lo_u32_b32 v0, v8, 0
	v_mbcnt_hi_u32_b32 v32, v9, v0
	v_cmp_eq_u32_e32 vcc, 0, v32
	v_cmp_ne_u64_e64 s[0:1], 0, v[8:9]
	s_and_b64 s[4:5], s[0:1], vcc
	; wave barrier
	s_and_saveexec_b64 s[0:1], s[4:5]
	s_cbranch_execz .LBB25_146
; %bb.145:
	v_bcnt_u32_b32 v0, v8, 0
	v_bcnt_u32_b32 v0, v9, v0
	s_waitcnt lgkmcnt(0)
	v_add_u32_e32 v0, v28, v0
	ds_write_b32 v29, v0 offset:64
.LBB25_146:
	s_or_b64 exec, exec, s[0:1]
	s_waitcnt vmcnt(6)
	v_xor_b32_e32 v31, 0x80000000, v31
	v_lshrrev_b32_e32 v0, s68, v31
	v_and_b32_e32 v37, s14, v0
	v_lshl_add_u32 v0, v37, 4, v37
	v_add_lshl_u32 v34, v20, v0, 2
	v_and_b32_e32 v0, 1, v37
	v_lshl_add_u64 v[8:9], v[0:1], 0, -1
	v_cmp_ne_u32_e32 vcc, 0, v0
	; wave barrier
	s_nop 1
	v_xor_b32_e32 v8, vcc_lo, v8
	v_xor_b32_e32 v0, vcc_hi, v9
	v_and_b32_e32 v38, exec_lo, v8
	v_lshlrev_b32_e32 v9, 30, v37
	v_mov_b32_e32 v8, v1
	v_cmp_gt_i64_e32 vcc, 0, v[8:9]
	v_not_b32_e32 v8, v9
	v_ashrrev_i32_e32 v8, 31, v8
	v_and_b32_e32 v0, exec_hi, v0
	v_xor_b32_e32 v9, vcc_hi, v8
	v_xor_b32_e32 v8, vcc_lo, v8
	v_and_b32_e32 v0, v0, v9
	v_and_b32_e32 v38, v38, v8
	v_lshlrev_b32_e32 v9, 29, v37
	v_mov_b32_e32 v8, v1
	v_cmp_gt_i64_e32 vcc, 0, v[8:9]
	v_not_b32_e32 v8, v9
	v_ashrrev_i32_e32 v8, 31, v8
	v_xor_b32_e32 v9, vcc_hi, v8
	v_xor_b32_e32 v8, vcc_lo, v8
	v_and_b32_e32 v0, v0, v9
	v_and_b32_e32 v38, v38, v8
	v_lshlrev_b32_e32 v9, 28, v37
	v_mov_b32_e32 v8, v1
	v_cmp_gt_i64_e32 vcc, 0, v[8:9]
	v_not_b32_e32 v8, v9
	v_ashrrev_i32_e32 v8, 31, v8
	;; [unrolled: 9-line block ×5, first 2 shown]
	v_xor_b32_e32 v9, vcc_hi, v8
	v_xor_b32_e32 v8, vcc_lo, v8
	v_and_b32_e32 v0, v0, v9
	v_lshlrev_b32_e32 v9, 24, v37
	v_and_b32_e32 v38, v38, v8
	v_mov_b32_e32 v8, v1
	v_not_b32_e32 v1, v9
	v_cmp_gt_i64_e32 vcc, 0, v[8:9]
	v_ashrrev_i32_e32 v1, 31, v1
	ds_read_b32 v33, v34 offset:64
	v_xor_b32_e32 v8, vcc_hi, v1
	v_xor_b32_e32 v9, vcc_lo, v1
	v_and_b32_e32 v1, v0, v8
	v_and_b32_e32 v0, v38, v9
	v_mbcnt_lo_u32_b32 v8, v0, 0
	v_mbcnt_hi_u32_b32 v37, v1, v8
	v_cmp_eq_u32_e32 vcc, 0, v37
	v_cmp_ne_u64_e64 s[0:1], 0, v[0:1]
	s_and_b64 s[4:5], s[0:1], vcc
	; wave barrier
	s_and_saveexec_b64 s[0:1], s[4:5]
	s_cbranch_execz .LBB25_148
; %bb.147:
	v_bcnt_u32_b32 v0, v0, 0
	v_bcnt_u32_b32 v0, v1, v0
	s_waitcnt lgkmcnt(0)
	v_add_u32_e32 v0, v33, v0
	ds_write_b32 v34, v0 offset:64
.LBB25_148:
	s_or_b64 exec, exec, s[0:1]
	s_waitcnt vmcnt(5)
	v_xor_b32_e32 v36, 0x80000000, v36
	v_lshrrev_b32_e32 v0, s68, v36
	v_and_b32_e32 v41, s14, v0
	v_lshl_add_u32 v0, v41, 4, v41
	v_add_lshl_u32 v39, v20, v0, 2
	v_and_b32_e32 v0, 1, v41
	v_mov_b32_e32 v1, 0
	v_lshl_add_u64 v[8:9], v[0:1], 0, -1
	v_cmp_ne_u32_e32 vcc, 0, v0
	; wave barrier
	s_nop 1
	v_xor_b32_e32 v8, vcc_lo, v8
	v_xor_b32_e32 v0, vcc_hi, v9
	v_and_b32_e32 v42, exec_lo, v8
	v_lshlrev_b32_e32 v9, 30, v41
	v_mov_b32_e32 v8, v1
	v_cmp_gt_i64_e32 vcc, 0, v[8:9]
	v_not_b32_e32 v8, v9
	v_ashrrev_i32_e32 v8, 31, v8
	v_and_b32_e32 v0, exec_hi, v0
	v_xor_b32_e32 v9, vcc_hi, v8
	v_xor_b32_e32 v8, vcc_lo, v8
	v_and_b32_e32 v0, v0, v9
	v_and_b32_e32 v42, v42, v8
	v_lshlrev_b32_e32 v9, 29, v41
	v_mov_b32_e32 v8, v1
	v_cmp_gt_i64_e32 vcc, 0, v[8:9]
	v_not_b32_e32 v8, v9
	v_ashrrev_i32_e32 v8, 31, v8
	v_xor_b32_e32 v9, vcc_hi, v8
	v_xor_b32_e32 v8, vcc_lo, v8
	v_and_b32_e32 v0, v0, v9
	v_and_b32_e32 v42, v42, v8
	v_lshlrev_b32_e32 v9, 28, v41
	v_mov_b32_e32 v8, v1
	v_cmp_gt_i64_e32 vcc, 0, v[8:9]
	v_not_b32_e32 v8, v9
	v_ashrrev_i32_e32 v8, 31, v8
	v_xor_b32_e32 v9, vcc_hi, v8
	v_xor_b32_e32 v8, vcc_lo, v8
	v_and_b32_e32 v0, v0, v9
	v_and_b32_e32 v42, v42, v8
	v_lshlrev_b32_e32 v9, 27, v41
	v_mov_b32_e32 v8, v1
	v_cmp_gt_i64_e32 vcc, 0, v[8:9]
	v_not_b32_e32 v8, v9
	v_ashrrev_i32_e32 v8, 31, v8
	v_xor_b32_e32 v9, vcc_hi, v8
	v_xor_b32_e32 v8, vcc_lo, v8
	v_and_b32_e32 v0, v0, v9
	v_and_b32_e32 v42, v42, v8
	v_lshlrev_b32_e32 v9, 26, v41
	v_mov_b32_e32 v8, v1
	v_cmp_gt_i64_e32 vcc, 0, v[8:9]
	v_not_b32_e32 v8, v9
	v_ashrrev_i32_e32 v8, 31, v8
	v_xor_b32_e32 v9, vcc_hi, v8
	v_xor_b32_e32 v8, vcc_lo, v8
	v_and_b32_e32 v0, v0, v9
	v_and_b32_e32 v42, v42, v8
	v_lshlrev_b32_e32 v9, 25, v41
	v_mov_b32_e32 v8, v1
	v_cmp_gt_i64_e32 vcc, 0, v[8:9]
	v_not_b32_e32 v8, v9
	v_ashrrev_i32_e32 v8, 31, v8
	v_xor_b32_e32 v9, vcc_hi, v8
	v_xor_b32_e32 v8, vcc_lo, v8
	v_and_b32_e32 v0, v0, v9
	v_and_b32_e32 v42, v42, v8
	v_lshlrev_b32_e32 v9, 24, v41
	v_mov_b32_e32 v8, v1
	v_cmp_gt_i64_e32 vcc, 0, v[8:9]
	v_not_b32_e32 v8, v9
	v_ashrrev_i32_e32 v8, 31, v8
	v_xor_b32_e32 v9, vcc_hi, v8
	v_xor_b32_e32 v8, vcc_lo, v8
	ds_read_b32 v38, v39 offset:64
	v_and_b32_e32 v8, v42, v8
	v_and_b32_e32 v9, v0, v9
	v_mbcnt_lo_u32_b32 v0, v8, 0
	v_mbcnt_hi_u32_b32 v41, v9, v0
	v_cmp_eq_u32_e32 vcc, 0, v41
	v_cmp_ne_u64_e64 s[0:1], 0, v[8:9]
	s_and_b64 s[4:5], s[0:1], vcc
	; wave barrier
	s_and_saveexec_b64 s[0:1], s[4:5]
	s_cbranch_execz .LBB25_150
; %bb.149:
	v_bcnt_u32_b32 v0, v8, 0
	v_bcnt_u32_b32 v0, v9, v0
	s_waitcnt lgkmcnt(0)
	v_add_u32_e32 v0, v38, v0
	ds_write_b32 v39, v0 offset:64
.LBB25_150:
	s_or_b64 exec, exec, s[0:1]
	s_waitcnt vmcnt(4)
	v_xor_b32_e32 v40, 0x80000000, v40
	v_lshrrev_b32_e32 v0, s68, v40
	v_and_b32_e32 v44, s14, v0
	v_lshl_add_u32 v0, v44, 4, v44
	v_add_lshl_u32 v43, v20, v0, 2
	v_and_b32_e32 v0, 1, v44
	v_lshl_add_u64 v[8:9], v[0:1], 0, -1
	v_cmp_ne_u32_e32 vcc, 0, v0
	; wave barrier
	s_nop 1
	v_xor_b32_e32 v8, vcc_lo, v8
	v_xor_b32_e32 v0, vcc_hi, v9
	v_and_b32_e32 v45, exec_lo, v8
	v_lshlrev_b32_e32 v9, 30, v44
	v_mov_b32_e32 v8, v1
	v_cmp_gt_i64_e32 vcc, 0, v[8:9]
	v_not_b32_e32 v8, v9
	v_ashrrev_i32_e32 v8, 31, v8
	v_and_b32_e32 v0, exec_hi, v0
	v_xor_b32_e32 v9, vcc_hi, v8
	v_xor_b32_e32 v8, vcc_lo, v8
	v_and_b32_e32 v0, v0, v9
	v_and_b32_e32 v45, v45, v8
	v_lshlrev_b32_e32 v9, 29, v44
	v_mov_b32_e32 v8, v1
	v_cmp_gt_i64_e32 vcc, 0, v[8:9]
	v_not_b32_e32 v8, v9
	v_ashrrev_i32_e32 v8, 31, v8
	v_xor_b32_e32 v9, vcc_hi, v8
	v_xor_b32_e32 v8, vcc_lo, v8
	v_and_b32_e32 v0, v0, v9
	v_and_b32_e32 v45, v45, v8
	v_lshlrev_b32_e32 v9, 28, v44
	v_mov_b32_e32 v8, v1
	v_cmp_gt_i64_e32 vcc, 0, v[8:9]
	v_not_b32_e32 v8, v9
	v_ashrrev_i32_e32 v8, 31, v8
	v_xor_b32_e32 v9, vcc_hi, v8
	v_xor_b32_e32 v8, vcc_lo, v8
	v_and_b32_e32 v0, v0, v9
	v_and_b32_e32 v45, v45, v8
	v_lshlrev_b32_e32 v9, 27, v44
	v_mov_b32_e32 v8, v1
	v_cmp_gt_i64_e32 vcc, 0, v[8:9]
	v_not_b32_e32 v8, v9
	v_ashrrev_i32_e32 v8, 31, v8
	v_xor_b32_e32 v9, vcc_hi, v8
	v_xor_b32_e32 v8, vcc_lo, v8
	v_and_b32_e32 v0, v0, v9
	v_and_b32_e32 v45, v45, v8
	v_lshlrev_b32_e32 v9, 26, v44
	v_mov_b32_e32 v8, v1
	v_cmp_gt_i64_e32 vcc, 0, v[8:9]
	v_not_b32_e32 v8, v9
	v_ashrrev_i32_e32 v8, 31, v8
	v_xor_b32_e32 v9, vcc_hi, v8
	v_xor_b32_e32 v8, vcc_lo, v8
	v_and_b32_e32 v0, v0, v9
	v_and_b32_e32 v45, v45, v8
	v_lshlrev_b32_e32 v9, 25, v44
	v_mov_b32_e32 v8, v1
	v_cmp_gt_i64_e32 vcc, 0, v[8:9]
	v_not_b32_e32 v8, v9
	v_ashrrev_i32_e32 v8, 31, v8
	v_xor_b32_e32 v9, vcc_hi, v8
	v_xor_b32_e32 v8, vcc_lo, v8
	v_and_b32_e32 v0, v0, v9
	v_lshlrev_b32_e32 v9, 24, v44
	v_and_b32_e32 v45, v45, v8
	v_mov_b32_e32 v8, v1
	v_not_b32_e32 v1, v9
	v_cmp_gt_i64_e32 vcc, 0, v[8:9]
	v_ashrrev_i32_e32 v1, 31, v1
	ds_read_b32 v42, v43 offset:64
	v_xor_b32_e32 v8, vcc_hi, v1
	v_xor_b32_e32 v9, vcc_lo, v1
	v_and_b32_e32 v1, v0, v8
	v_and_b32_e32 v0, v45, v9
	v_mbcnt_lo_u32_b32 v8, v0, 0
	v_mbcnt_hi_u32_b32 v44, v1, v8
	v_cmp_eq_u32_e32 vcc, 0, v44
	v_cmp_ne_u64_e64 s[0:1], 0, v[0:1]
	s_and_b64 s[4:5], s[0:1], vcc
	; wave barrier
	s_and_saveexec_b64 s[0:1], s[4:5]
	s_cbranch_execz .LBB25_152
; %bb.151:
	v_bcnt_u32_b32 v0, v0, 0
	v_bcnt_u32_b32 v0, v1, v0
	s_waitcnt lgkmcnt(0)
	v_add_u32_e32 v0, v42, v0
	ds_write_b32 v43, v0 offset:64
.LBB25_152:
	s_or_b64 exec, exec, s[0:1]
	s_waitcnt vmcnt(3)
	v_xor_b32_e32 v35, 0x80000000, v35
	v_lshrrev_b32_e32 v0, s68, v35
	v_and_b32_e32 v47, s14, v0
	v_lshl_add_u32 v0, v47, 4, v47
	v_add_lshl_u32 v46, v20, v0, 2
	v_and_b32_e32 v0, 1, v47
	v_mov_b32_e32 v1, 0
	v_lshl_add_u64 v[8:9], v[0:1], 0, -1
	v_cmp_ne_u32_e32 vcc, 0, v0
	; wave barrier
	s_nop 1
	v_xor_b32_e32 v8, vcc_lo, v8
	v_xor_b32_e32 v0, vcc_hi, v9
	v_and_b32_e32 v48, exec_lo, v8
	v_lshlrev_b32_e32 v9, 30, v47
	v_mov_b32_e32 v8, v1
	v_cmp_gt_i64_e32 vcc, 0, v[8:9]
	v_not_b32_e32 v8, v9
	v_ashrrev_i32_e32 v8, 31, v8
	v_and_b32_e32 v0, exec_hi, v0
	v_xor_b32_e32 v9, vcc_hi, v8
	v_xor_b32_e32 v8, vcc_lo, v8
	v_and_b32_e32 v0, v0, v9
	v_and_b32_e32 v48, v48, v8
	v_lshlrev_b32_e32 v9, 29, v47
	v_mov_b32_e32 v8, v1
	v_cmp_gt_i64_e32 vcc, 0, v[8:9]
	v_not_b32_e32 v8, v9
	v_ashrrev_i32_e32 v8, 31, v8
	v_xor_b32_e32 v9, vcc_hi, v8
	v_xor_b32_e32 v8, vcc_lo, v8
	v_and_b32_e32 v0, v0, v9
	v_and_b32_e32 v48, v48, v8
	v_lshlrev_b32_e32 v9, 28, v47
	v_mov_b32_e32 v8, v1
	v_cmp_gt_i64_e32 vcc, 0, v[8:9]
	v_not_b32_e32 v8, v9
	v_ashrrev_i32_e32 v8, 31, v8
	;; [unrolled: 9-line block ×6, first 2 shown]
	v_xor_b32_e32 v9, vcc_hi, v8
	v_xor_b32_e32 v8, vcc_lo, v8
	ds_read_b32 v45, v46 offset:64
	v_and_b32_e32 v8, v48, v8
	v_and_b32_e32 v9, v0, v9
	v_mbcnt_lo_u32_b32 v0, v8, 0
	v_mbcnt_hi_u32_b32 v47, v9, v0
	v_cmp_eq_u32_e32 vcc, 0, v47
	v_cmp_ne_u64_e64 s[0:1], 0, v[8:9]
	s_and_b64 s[4:5], s[0:1], vcc
	; wave barrier
	s_and_saveexec_b64 s[0:1], s[4:5]
	s_cbranch_execz .LBB25_154
; %bb.153:
	v_bcnt_u32_b32 v0, v8, 0
	v_bcnt_u32_b32 v0, v9, v0
	s_waitcnt lgkmcnt(0)
	v_add_u32_e32 v0, v45, v0
	ds_write_b32 v46, v0 offset:64
.LBB25_154:
	s_or_b64 exec, exec, s[0:1]
	s_waitcnt vmcnt(2)
	v_xor_b32_e32 v30, 0x80000000, v30
	v_lshrrev_b32_e32 v0, s68, v30
	v_and_b32_e32 v50, s14, v0
	v_lshl_add_u32 v0, v50, 4, v50
	v_add_lshl_u32 v49, v20, v0, 2
	v_and_b32_e32 v0, 1, v50
	v_lshl_add_u64 v[8:9], v[0:1], 0, -1
	v_cmp_ne_u32_e32 vcc, 0, v0
	; wave barrier
	s_nop 1
	v_xor_b32_e32 v8, vcc_lo, v8
	v_xor_b32_e32 v0, vcc_hi, v9
	v_and_b32_e32 v51, exec_lo, v8
	v_lshlrev_b32_e32 v9, 30, v50
	v_mov_b32_e32 v8, v1
	v_cmp_gt_i64_e32 vcc, 0, v[8:9]
	v_not_b32_e32 v8, v9
	v_ashrrev_i32_e32 v8, 31, v8
	v_and_b32_e32 v0, exec_hi, v0
	v_xor_b32_e32 v9, vcc_hi, v8
	v_xor_b32_e32 v8, vcc_lo, v8
	v_and_b32_e32 v0, v0, v9
	v_and_b32_e32 v51, v51, v8
	v_lshlrev_b32_e32 v9, 29, v50
	v_mov_b32_e32 v8, v1
	v_cmp_gt_i64_e32 vcc, 0, v[8:9]
	v_not_b32_e32 v8, v9
	v_ashrrev_i32_e32 v8, 31, v8
	v_xor_b32_e32 v9, vcc_hi, v8
	v_xor_b32_e32 v8, vcc_lo, v8
	v_and_b32_e32 v0, v0, v9
	v_and_b32_e32 v51, v51, v8
	v_lshlrev_b32_e32 v9, 28, v50
	v_mov_b32_e32 v8, v1
	v_cmp_gt_i64_e32 vcc, 0, v[8:9]
	v_not_b32_e32 v8, v9
	v_ashrrev_i32_e32 v8, 31, v8
	;; [unrolled: 9-line block ×5, first 2 shown]
	v_xor_b32_e32 v9, vcc_hi, v8
	v_xor_b32_e32 v8, vcc_lo, v8
	v_and_b32_e32 v0, v0, v9
	v_lshlrev_b32_e32 v9, 24, v50
	v_and_b32_e32 v51, v51, v8
	v_mov_b32_e32 v8, v1
	v_not_b32_e32 v1, v9
	v_cmp_gt_i64_e32 vcc, 0, v[8:9]
	v_ashrrev_i32_e32 v1, 31, v1
	ds_read_b32 v48, v49 offset:64
	v_xor_b32_e32 v8, vcc_hi, v1
	v_xor_b32_e32 v9, vcc_lo, v1
	v_and_b32_e32 v1, v0, v8
	v_and_b32_e32 v0, v51, v9
	v_mbcnt_lo_u32_b32 v8, v0, 0
	v_mbcnt_hi_u32_b32 v51, v1, v8
	v_cmp_eq_u32_e32 vcc, 0, v51
	v_cmp_ne_u64_e64 s[0:1], 0, v[0:1]
	s_and_b64 s[4:5], s[0:1], vcc
	; wave barrier
	s_and_saveexec_b64 s[0:1], s[4:5]
	s_cbranch_execz .LBB25_156
; %bb.155:
	v_bcnt_u32_b32 v0, v0, 0
	v_bcnt_u32_b32 v0, v1, v0
	s_waitcnt lgkmcnt(0)
	v_add_u32_e32 v0, v48, v0
	ds_write_b32 v49, v0 offset:64
.LBB25_156:
	s_or_b64 exec, exec, s[0:1]
	s_waitcnt vmcnt(1)
	v_xor_b32_e32 v50, 0x80000000, v25
	v_lshrrev_b32_e32 v0, s68, v50
	v_and_b32_e32 v53, s14, v0
	v_lshl_add_u32 v0, v53, 4, v53
	v_add_lshl_u32 v25, v20, v0, 2
	v_and_b32_e32 v0, 1, v53
	v_mov_b32_e32 v1, 0
	v_lshl_add_u64 v[8:9], v[0:1], 0, -1
	v_cmp_ne_u32_e32 vcc, 0, v0
	; wave barrier
	s_nop 1
	v_xor_b32_e32 v8, vcc_lo, v8
	v_xor_b32_e32 v0, vcc_hi, v9
	v_and_b32_e32 v54, exec_lo, v8
	v_lshlrev_b32_e32 v9, 30, v53
	v_mov_b32_e32 v8, v1
	v_cmp_gt_i64_e32 vcc, 0, v[8:9]
	v_not_b32_e32 v8, v9
	v_ashrrev_i32_e32 v8, 31, v8
	v_and_b32_e32 v0, exec_hi, v0
	v_xor_b32_e32 v9, vcc_hi, v8
	v_xor_b32_e32 v8, vcc_lo, v8
	v_and_b32_e32 v0, v0, v9
	v_and_b32_e32 v54, v54, v8
	v_lshlrev_b32_e32 v9, 29, v53
	v_mov_b32_e32 v8, v1
	v_cmp_gt_i64_e32 vcc, 0, v[8:9]
	v_not_b32_e32 v8, v9
	v_ashrrev_i32_e32 v8, 31, v8
	v_xor_b32_e32 v9, vcc_hi, v8
	v_xor_b32_e32 v8, vcc_lo, v8
	v_and_b32_e32 v0, v0, v9
	v_and_b32_e32 v54, v54, v8
	v_lshlrev_b32_e32 v9, 28, v53
	v_mov_b32_e32 v8, v1
	v_cmp_gt_i64_e32 vcc, 0, v[8:9]
	v_not_b32_e32 v8, v9
	v_ashrrev_i32_e32 v8, 31, v8
	v_xor_b32_e32 v9, vcc_hi, v8
	v_xor_b32_e32 v8, vcc_lo, v8
	v_and_b32_e32 v0, v0, v9
	v_and_b32_e32 v54, v54, v8
	v_lshlrev_b32_e32 v9, 27, v53
	v_mov_b32_e32 v8, v1
	v_cmp_gt_i64_e32 vcc, 0, v[8:9]
	v_not_b32_e32 v8, v9
	v_ashrrev_i32_e32 v8, 31, v8
	v_xor_b32_e32 v9, vcc_hi, v8
	v_xor_b32_e32 v8, vcc_lo, v8
	v_and_b32_e32 v0, v0, v9
	v_and_b32_e32 v54, v54, v8
	v_lshlrev_b32_e32 v9, 26, v53
	v_mov_b32_e32 v8, v1
	v_cmp_gt_i64_e32 vcc, 0, v[8:9]
	v_not_b32_e32 v8, v9
	v_ashrrev_i32_e32 v8, 31, v8
	v_xor_b32_e32 v9, vcc_hi, v8
	v_xor_b32_e32 v8, vcc_lo, v8
	v_and_b32_e32 v0, v0, v9
	v_and_b32_e32 v54, v54, v8
	v_lshlrev_b32_e32 v9, 25, v53
	v_mov_b32_e32 v8, v1
	v_cmp_gt_i64_e32 vcc, 0, v[8:9]
	v_not_b32_e32 v8, v9
	v_ashrrev_i32_e32 v8, 31, v8
	v_xor_b32_e32 v9, vcc_hi, v8
	v_xor_b32_e32 v8, vcc_lo, v8
	v_and_b32_e32 v0, v0, v9
	v_and_b32_e32 v54, v54, v8
	v_lshlrev_b32_e32 v9, 24, v53
	v_mov_b32_e32 v8, v1
	v_cmp_gt_i64_e32 vcc, 0, v[8:9]
	v_not_b32_e32 v8, v9
	v_ashrrev_i32_e32 v8, 31, v8
	v_xor_b32_e32 v9, vcc_hi, v8
	v_xor_b32_e32 v8, vcc_lo, v8
	ds_read_b32 v52, v25 offset:64
	v_and_b32_e32 v8, v54, v8
	v_and_b32_e32 v9, v0, v9
	v_mbcnt_lo_u32_b32 v0, v8, 0
	v_mbcnt_hi_u32_b32 v54, v9, v0
	v_cmp_eq_u32_e32 vcc, 0, v54
	v_cmp_ne_u64_e64 s[0:1], 0, v[8:9]
	s_and_b64 s[4:5], s[0:1], vcc
	; wave barrier
	s_and_saveexec_b64 s[0:1], s[4:5]
	s_cbranch_execz .LBB25_158
; %bb.157:
	v_bcnt_u32_b32 v0, v8, 0
	v_bcnt_u32_b32 v0, v9, v0
	s_waitcnt lgkmcnt(0)
	v_add_u32_e32 v0, v52, v0
	ds_write_b32 v25, v0 offset:64
.LBB25_158:
	s_or_b64 exec, exec, s[0:1]
	s_waitcnt vmcnt(0)
	v_xor_b32_e32 v53, 0x80000000, v19
	v_lshrrev_b32_e32 v0, s68, v53
	v_and_b32_e32 v19, s14, v0
	v_lshl_add_u32 v0, v19, 4, v19
	v_add_lshl_u32 v55, v20, v0, 2
	v_and_b32_e32 v0, 1, v19
	v_lshl_add_u64 v[8:9], v[0:1], 0, -1
	v_cmp_ne_u32_e32 vcc, 0, v0
	; wave barrier
	s_nop 1
	v_xor_b32_e32 v8, vcc_lo, v8
	v_xor_b32_e32 v0, vcc_hi, v9
	v_and_b32_e32 v57, exec_lo, v8
	v_lshlrev_b32_e32 v9, 30, v19
	v_mov_b32_e32 v8, v1
	v_cmp_gt_i64_e32 vcc, 0, v[8:9]
	v_not_b32_e32 v8, v9
	v_ashrrev_i32_e32 v8, 31, v8
	v_and_b32_e32 v0, exec_hi, v0
	v_xor_b32_e32 v9, vcc_hi, v8
	v_xor_b32_e32 v8, vcc_lo, v8
	v_and_b32_e32 v0, v0, v9
	v_and_b32_e32 v57, v57, v8
	v_lshlrev_b32_e32 v9, 29, v19
	v_mov_b32_e32 v8, v1
	v_cmp_gt_i64_e32 vcc, 0, v[8:9]
	v_not_b32_e32 v8, v9
	v_ashrrev_i32_e32 v8, 31, v8
	v_xor_b32_e32 v9, vcc_hi, v8
	v_xor_b32_e32 v8, vcc_lo, v8
	v_and_b32_e32 v0, v0, v9
	v_and_b32_e32 v57, v57, v8
	v_lshlrev_b32_e32 v9, 28, v19
	v_mov_b32_e32 v8, v1
	v_cmp_gt_i64_e32 vcc, 0, v[8:9]
	v_not_b32_e32 v8, v9
	v_ashrrev_i32_e32 v8, 31, v8
	;; [unrolled: 9-line block ×5, first 2 shown]
	v_xor_b32_e32 v9, vcc_hi, v8
	v_xor_b32_e32 v8, vcc_lo, v8
	v_and_b32_e32 v0, v0, v9
	v_lshlrev_b32_e32 v9, 24, v19
	v_and_b32_e32 v57, v57, v8
	v_mov_b32_e32 v8, v1
	v_not_b32_e32 v1, v9
	v_cmp_gt_i64_e32 vcc, 0, v[8:9]
	v_ashrrev_i32_e32 v1, 31, v1
	ds_read_b32 v20, v55 offset:64
	v_xor_b32_e32 v8, vcc_hi, v1
	v_xor_b32_e32 v9, vcc_lo, v1
	v_and_b32_e32 v1, v0, v8
	v_and_b32_e32 v0, v57, v9
	v_mbcnt_lo_u32_b32 v8, v0, 0
	v_mbcnt_hi_u32_b32 v57, v1, v8
	v_cmp_eq_u32_e32 vcc, 0, v57
	v_cmp_ne_u64_e64 s[0:1], 0, v[0:1]
	v_add_u32_e32 v56, 64, v7
	s_and_b64 s[4:5], s[0:1], vcc
	; wave barrier
	s_and_saveexec_b64 s[0:1], s[4:5]
	s_cbranch_execz .LBB25_160
; %bb.159:
	v_bcnt_u32_b32 v0, v0, 0
	v_bcnt_u32_b32 v0, v1, v0
	s_waitcnt lgkmcnt(0)
	v_add_u32_e32 v0, v20, v0
	ds_write_b32 v55, v0 offset:64
.LBB25_160:
	s_or_b64 exec, exec, s[0:1]
	; wave barrier
	s_waitcnt lgkmcnt(0)
	s_barrier
	ds_read2_b32 v[8:9], v7 offset0:16 offset1:17
	ds_read2_b32 v[0:1], v56 offset0:2 offset1:3
	ds_read_b32 v19, v56 offset:16
	v_cmp_lt_u32_e64 s[8:9], 31, v4
	s_waitcnt lgkmcnt(1)
	v_add3_u32 v58, v9, v8, v0
	s_waitcnt lgkmcnt(0)
	v_add3_u32 v19, v58, v1, v19
	v_and_b32_e32 v58, 15, v4
	v_cmp_eq_u32_e32 vcc, 0, v58
	v_mov_b32_dpp v59, v19 row_shr:1 row_mask:0xf bank_mask:0xf
	v_cmp_lt_u32_e64 s[0:1], 1, v58
	v_cndmask_b32_e64 v59, v59, 0, vcc
	v_add_u32_e32 v19, v59, v19
	v_cmp_lt_u32_e64 s[6:7], 3, v58
	v_cmp_lt_u32_e64 s[4:5], 7, v58
	v_mov_b32_dpp v59, v19 row_shr:2 row_mask:0xf bank_mask:0xf
	v_cndmask_b32_e64 v59, 0, v59, s[0:1]
	v_add_u32_e32 v19, v19, v59
	s_nop 1
	v_mov_b32_dpp v59, v19 row_shr:4 row_mask:0xf bank_mask:0xf
	v_cndmask_b32_e64 v59, 0, v59, s[6:7]
	v_add_u32_e32 v19, v19, v59
	s_nop 1
	v_mov_b32_dpp v59, v19 row_shr:8 row_mask:0xf bank_mask:0xf
	v_cndmask_b32_e64 v58, 0, v59, s[4:5]
	v_add_u32_e32 v19, v19, v58
	v_bfe_i32 v59, v4, 4, 1
	s_nop 0
	v_mov_b32_dpp v58, v19 row_bcast:15 row_mask:0xf bank_mask:0xf
	v_and_b32_e32 v58, v59, v58
	v_add_u32_e32 v19, v19, v58
	v_lshrrev_b32_e32 v59, 6, v2
	s_nop 0
	v_mov_b32_dpp v58, v19 row_bcast:31 row_mask:0xf bank_mask:0xf
	v_cndmask_b32_e64 v58, 0, v58, s[8:9]
	v_add_u32_e32 v58, v19, v58
	v_and_b32_e32 v19, 63, v2
	v_cmp_eq_u32_e64 s[8:9], 63, v19
	s_and_saveexec_b64 s[12:13], s[8:9]
	s_cbranch_execz .LBB25_162
; %bb.161:
	v_lshlrev_b32_e32 v19, 2, v59
	ds_write_b32 v19, v58
.LBB25_162:
	s_or_b64 exec, exec, s[12:13]
	v_cmp_gt_u32_e64 s[8:9], 16, v2
	v_lshlrev_b32_e32 v19, 2, v2
	s_waitcnt lgkmcnt(0)
	s_barrier
	s_and_saveexec_b64 s[12:13], s[8:9]
	s_cbranch_execz .LBB25_164
; %bb.163:
	ds_read_b32 v60, v19
	s_waitcnt lgkmcnt(0)
	s_nop 0
	v_mov_b32_dpp v61, v60 row_shr:1 row_mask:0xf bank_mask:0xf
	v_cndmask_b32_e64 v61, v61, 0, vcc
	v_add_u32_e32 v60, v61, v60
	s_nop 1
	v_mov_b32_dpp v61, v60 row_shr:2 row_mask:0xf bank_mask:0xf
	v_cndmask_b32_e64 v61, 0, v61, s[0:1]
	v_add_u32_e32 v60, v60, v61
	s_nop 1
	v_mov_b32_dpp v61, v60 row_shr:4 row_mask:0xf bank_mask:0xf
	v_cndmask_b32_e64 v61, 0, v61, s[6:7]
	v_add_u32_e32 v60, v60, v61
	s_nop 1
	v_mov_b32_dpp v61, v60 row_shr:8 row_mask:0xf bank_mask:0xf
	v_cndmask_b32_e64 v61, 0, v61, s[4:5]
	v_add_u32_e32 v60, v60, v61
	ds_write_b32 v19, v60
.LBB25_164:
	s_or_b64 exec, exec, s[12:13]
	v_cmp_lt_u32_e32 vcc, 63, v2
	v_mov_b32_e32 v60, 0
	s_waitcnt lgkmcnt(0)
	s_barrier
	s_and_saveexec_b64 s[0:1], vcc
	s_cbranch_execz .LBB25_166
; %bb.165:
	v_lshl_add_u32 v59, v59, 2, -4
	ds_read_b32 v60, v59
.LBB25_166:
	s_or_b64 exec, exec, s[0:1]
	v_add_u32_e32 v59, -1, v4
	v_and_b32_e32 v61, 64, v4
	v_cmp_lt_i32_e32 vcc, v59, v61
	s_waitcnt lgkmcnt(0)
	v_add_u32_e32 v58, v60, v58
	s_movk_i32 s4, 0xff
	v_cndmask_b32_e32 v59, v59, v4, vcc
	v_lshlrev_b32_e32 v59, 2, v59
	ds_bpermute_b32 v58, v59, v58
	v_cmp_eq_u32_e32 vcc, 0, v4
	s_movk_i32 s5, 0x100
	v_cmp_lt_u32_e64 s[0:1], s4, v2
	s_waitcnt lgkmcnt(0)
	v_cndmask_b32_e32 v58, v58, v60, vcc
	v_cmp_ne_u32_e32 vcc, 0, v2
	s_nop 1
	v_cndmask_b32_e32 v58, 0, v58, vcc
	v_add_u32_e32 v8, v58, v8
	v_add_u32_e32 v9, v8, v9
	;; [unrolled: 1-line block ×4, first 2 shown]
	ds_write2_b32 v7, v58, v8 offset0:16 offset1:17
	ds_write2_b32 v56, v9, v0 offset0:2 offset1:3
	ds_write_b32 v56, v1 offset:16
	s_waitcnt lgkmcnt(0)
	s_barrier
	ds_read_b32 v9, v12 offset:64
	ds_read_b32 v12, v14 offset:64
	;; [unrolled: 1-line block ×12, first 2 shown]
	v_cmp_gt_u32_e32 vcc, s5, v2
	v_mov_b64_e32 v[0:1], 0
                                        ; implicit-def: $vgpr8
	s_and_saveexec_b64 s[6:7], vcc
	s_cbranch_execz .LBB25_170
; %bb.167:
	v_mul_u32_u24_e32 v0, 17, v2
	v_lshlrev_b32_e32 v7, 2, v0
	ds_read_b32 v0, v7 offset:64
	v_cmp_ne_u32_e64 s[4:5], s4, v2
	v_mov_b32_e32 v1, 0x3000
	s_and_saveexec_b64 s[8:9], s[4:5]
	s_cbranch_execz .LBB25_169
; %bb.168:
	ds_read_b32 v1, v7 offset:132
.LBB25_169:
	s_or_b64 exec, exec, s[8:9]
	s_waitcnt lgkmcnt(0)
	v_sub_u32_e32 v8, v1, v0
	v_mov_b32_e32 v1, 0
.LBB25_170:
	s_or_b64 exec, exec, s[6:7]
	s_waitcnt lgkmcnt(11)
	v_add_u32_e32 v9, v9, v11
	s_waitcnt lgkmcnt(10)
	v_add3_u32 v25, v16, v13, v12
	v_lshlrev_b32_e32 v11, 2, v9
	s_waitcnt lgkmcnt(9)
	v_add3_u32 v29, v22, v17, v14
	s_waitcnt lgkmcnt(0)
	s_barrier
	ds_write_b32 v11, v3 offset:2048
	v_lshlrev_b32_e32 v3, 2, v25
	v_add3_u32 v27, v27, v23, v18
	ds_write_b32 v3, v10 offset:2048
	v_lshlrev_b32_e32 v3, 2, v29
	v_add3_u32 v28, v32, v28, v24
	;; [unrolled: 3-line block ×9, first 2 shown]
	ds_write_b32 v3, v30 offset:2048
	v_lshlrev_b32_e32 v3, 2, v39
	v_mov_b32_e32 v7, v5
	ds_write_b32 v3, v50 offset:2048
	v_lshlrev_b32_e32 v3, 2, v41
	ds_write_b32 v3, v53 offset:2048
	s_waitcnt lgkmcnt(0)
	s_barrier
	s_and_saveexec_b64 s[4:5], s[0:1]
	s_xor_b64 s[0:1], exec, s[4:5]
; %bb.171:
	v_mov_b32_e32 v3, 0
; %bb.172:
	s_andn2_saveexec_b64 s[4:5], s[0:1]
	s_cbranch_execz .LBB25_182
; %bb.173:
	v_lshl_or_b32 v12, s2, 8, v2
	v_mov_b32_e32 v13, 0
	v_lshl_add_u64 v[10:11], v[12:13], 2, s[72:73]
	v_or_b32_e32 v3, 2.0, v8
	s_mov_b64 s[6:7], 0
	s_brev_b32 s15, 1
	s_mov_b32 s16, s2
	v_mov_b32_e32 v16, 0
	global_store_dword v[10:11], v3, off sc1
                                        ; implicit-def: $sgpr0_sgpr1
	s_branch .LBB25_176
.LBB25_174:                             ;   in Loop: Header=BB25_176 Depth=1
	s_or_b64 exec, exec, s[12:13]
.LBB25_175:                             ;   in Loop: Header=BB25_176 Depth=1
	s_or_b64 exec, exec, s[8:9]
	v_and_b32_e32 v12, 0x3fffffff, v12
	v_add_u32_e32 v16, v12, v16
	v_cmp_eq_u32_e64 s[0:1], s15, v3
	s_and_b64 s[8:9], exec, s[0:1]
	s_or_b64 s[6:7], s[8:9], s[6:7]
	s_andn2_b64 exec, exec, s[6:7]
	s_cbranch_execz .LBB25_181
.LBB25_176:                             ; =>This Loop Header: Depth=1
                                        ;     Child Loop BB25_179 Depth 2
	s_or_b64 s[0:1], s[0:1], exec
	s_cmp_eq_u32 s16, 0
	s_cbranch_scc1 .LBB25_180
; %bb.177:                              ;   in Loop: Header=BB25_176 Depth=1
	s_add_i32 s16, s16, -1
	v_lshl_or_b32 v12, s16, 8, v2
	v_lshl_add_u64 v[14:15], v[12:13], 2, s[72:73]
	global_load_dword v12, v[14:15], off sc1
	s_waitcnt vmcnt(0)
	v_and_b32_e32 v3, -2.0, v12
	v_cmp_eq_u32_e64 s[0:1], 0, v3
	s_and_saveexec_b64 s[8:9], s[0:1]
	s_cbranch_execz .LBB25_175
; %bb.178:                              ;   in Loop: Header=BB25_176 Depth=1
	s_mov_b64 s[12:13], 0
.LBB25_179:                             ;   Parent Loop BB25_176 Depth=1
                                        ; =>  This Inner Loop Header: Depth=2
	global_load_dword v12, v[14:15], off sc1
	s_waitcnt vmcnt(0)
	v_and_b32_e32 v3, -2.0, v12
	v_cmp_ne_u32_e64 s[0:1], 0, v3
	s_or_b64 s[12:13], s[0:1], s[12:13]
	s_andn2_b64 exec, exec, s[12:13]
	s_cbranch_execnz .LBB25_179
	s_branch .LBB25_174
.LBB25_180:                             ;   in Loop: Header=BB25_176 Depth=1
                                        ; implicit-def: $sgpr16
	s_and_b64 s[8:9], exec, s[0:1]
	s_or_b64 s[6:7], s[8:9], s[6:7]
	s_andn2_b64 exec, exec, s[6:7]
	s_cbranch_execnz .LBB25_176
.LBB25_181:
	s_or_b64 exec, exec, s[6:7]
	v_add_u32_e32 v3, v16, v8
	v_or_b32_e32 v3, 0x80000000, v3
	global_store_dword v[10:11], v3, off sc1
	v_lshlrev_b32_e32 v14, 3, v2
	global_load_dwordx2 v[10:11], v14, s[64:65]
	v_sub_co_u32_e64 v12, s[0:1], v16, v0
	v_mov_b32_e32 v3, 0
	s_nop 0
	v_subb_co_u32_e64 v13, s[0:1], 0, v1, s[0:1]
	s_waitcnt vmcnt(0)
	v_lshl_add_u64 v[10:11], v[12:13], 0, v[10:11]
	ds_write_b64 v14, v[10:11]
.LBB25_182:
	s_or_b64 exec, exec, s[4:5]
	s_waitcnt lgkmcnt(0)
	s_barrier
	ds_read2st64_b32 v[12:13], v19 offset0:24 offset1:40
	v_lshlrev_b32_e32 v10, 2, v2
	ds_read2st64_b32 v[14:15], v19 offset0:56 offset1:72
	ds_read_b32 v18, v10 offset:2048
	ds_read2st64_b32 v[16:17], v19 offset0:88 offset1:104
	s_waitcnt lgkmcnt(3)
	v_lshrrev_b32_e32 v11, s68, v12
	v_and_b32_e32 v11, s14, v11
	v_lshlrev_b32_e32 v31, 3, v11
	s_waitcnt lgkmcnt(2)
	v_lshrrev_b32_e32 v11, s68, v14
	v_and_b32_e32 v11, s14, v11
	s_waitcnt lgkmcnt(1)
	v_lshrrev_b32_e32 v24, s68, v18
	v_lshlrev_b32_e32 v35, 3, v11
	s_waitcnt lgkmcnt(0)
	v_lshrrev_b32_e32 v11, s68, v16
	v_and_b32_e32 v24, s14, v24
	v_and_b32_e32 v11, s14, v11
	v_lshlrev_b32_e32 v36, 3, v24
	v_lshlrev_b32_e32 v26, 3, v11
	ds_read_b64 v[10:11], v31
	ds_read_b64 v[20:21], v35
	;; [unrolled: 1-line block ×3, first 2 shown]
	v_lshrrev_b32_e32 v24, s68, v13
	ds_read_b64 v[42:43], v36
	v_and_b32_e32 v24, s14, v24
	v_lshlrev_b32_e32 v40, 3, v24
	v_lshrrev_b32_e32 v24, s68, v15
	v_and_b32_e32 v24, s14, v24
	v_lshlrev_b32_e32 v30, 3, v24
	v_lshrrev_b32_e32 v24, s68, v17
	v_and_b32_e32 v24, s14, v24
	s_waitcnt lgkmcnt(0)
	v_lshl_add_u64 v[42:43], v[42:43], 2, s[58:59]
	v_xor_b32_e32 v18, 0x80000000, v18
	v_lshlrev_b32_e32 v52, 3, v24
	ds_read_b64 v[44:45], v40
	ds_read_b64 v[46:47], v30
	;; [unrolled: 1-line block ×3, first 2 shown]
	v_lshl_add_u64 v[42:43], v[2:3], 2, v[42:43]
	global_store_dword v[42:43], v18, off
	v_lshl_add_u64 v[42:43], v[10:11], 2, s[58:59]
	v_or_b32_e32 v10, 0x1000, v19
	v_mov_b32_e32 v11, 0
	v_xor_b32_e32 v12, 0x80000000, v12
	v_lshl_add_u64 v[42:43], v[42:43], 0, v[10:11]
	global_store_dword v[42:43], v12, off
	v_xor_b32_e32 v18, 0x80000000, v13
	s_waitcnt lgkmcnt(2)
	v_lshl_add_u64 v[12:13], v[44:45], 2, s[58:59]
	v_or_b32_e32 v10, 0x2000, v19
	v_lshl_add_u64 v[12:13], v[12:13], 0, v[10:11]
	global_store_dword v[12:13], v18, off
	v_lshl_add_u64 v[12:13], v[20:21], 2, s[58:59]
	v_or_b32_e32 v10, 0x3000, v19
	v_xor_b32_e32 v14, 0x80000000, v14
	v_lshl_add_u64 v[12:13], v[12:13], 0, v[10:11]
	v_or_b32_e32 v10, 0x1000, v2
	global_store_dword v[12:13], v14, off
	v_xor_b32_e32 v18, 0x80000000, v15
	s_waitcnt lgkmcnt(1)
	v_lshl_add_u64 v[12:13], v[46:47], 2, s[58:59]
	v_lshlrev_b32_e32 v14, 2, v10
	v_mov_b32_e32 v15, v11
	v_lshl_add_u64 v[12:13], v[12:13], 0, v[14:15]
	global_store_dword v[12:13], v18, off
	v_or_b32_e32 v12, 0x1400, v2
	v_lshl_add_u64 v[14:15], v[22:23], 2, s[58:59]
	v_lshlrev_b32_e32 v20, 2, v12
	v_mov_b32_e32 v21, v11
	ds_read2st64_b32 v[22:23], v19 offset0:120 offset1:136
	v_xor_b32_e32 v13, 0x80000000, v16
	v_lshl_add_u64 v[14:15], v[14:15], 0, v[20:21]
	global_store_dword v[14:15], v13, off
	v_or_b32_e32 v14, 0x1800, v2
	v_xor_b32_e32 v13, 0x80000000, v17
	s_waitcnt lgkmcnt(1)
	v_lshl_add_u64 v[16:17], v[48:49], 2, s[58:59]
	v_lshlrev_b32_e32 v20, 2, v14
	v_lshl_add_u64 v[16:17], v[16:17], 0, v[20:21]
	ds_read2st64_b32 v[42:43], v19 offset0:152 offset1:168
	global_store_dword v[16:17], v13, off
	s_waitcnt lgkmcnt(1)
	v_lshrrev_b32_e32 v13, s68, v22
	v_and_b32_e32 v13, s14, v13
	v_lshlrev_b32_e32 v53, 3, v13
	v_lshrrev_b32_e32 v13, s68, v23
	v_and_b32_e32 v13, s14, v13
	v_lshlrev_b32_e32 v54, 3, v13
	s_waitcnt lgkmcnt(0)
	v_lshrrev_b32_e32 v13, s68, v42
	ds_read_b64 v[20:21], v53
	v_and_b32_e32 v13, s14, v13
	v_lshlrev_b32_e32 v55, 3, v13
	v_lshrrev_b32_e32 v13, s68, v43
	v_and_b32_e32 v13, s14, v13
	v_or_b32_e32 v16, 0x1c00, v2
	v_lshlrev_b32_e32 v56, 3, v13
	ds_read_b64 v[44:45], v54
	ds_read_b64 v[46:47], v55
	ds_read_b64 v[48:49], v56
	s_waitcnt lgkmcnt(3)
	v_lshl_add_u64 v[20:21], v[20:21], 2, s[58:59]
	v_lshlrev_b32_e32 v50, 2, v16
	v_mov_b32_e32 v51, v11
	v_xor_b32_e32 v15, 0x80000000, v22
	v_lshl_add_u64 v[20:21], v[20:21], 0, v[50:51]
	v_or_b32_e32 v18, 0x2000, v2
	global_store_dword v[20:21], v15, off
	v_xor_b32_e32 v13, 0x80000000, v23
	s_waitcnt lgkmcnt(2)
	v_lshl_add_u64 v[20:21], v[44:45], 2, s[58:59]
	v_lshlrev_b32_e32 v22, 2, v18
	v_mov_b32_e32 v23, v11
	v_lshl_add_u64 v[20:21], v[20:21], 0, v[22:23]
	global_store_dword v[20:21], v13, off
	v_or_b32_e32 v20, 0x2400, v2
	s_waitcnt lgkmcnt(1)
	v_lshl_add_u64 v[22:23], v[46:47], 2, s[58:59]
	v_lshlrev_b32_e32 v44, 2, v20
	v_mov_b32_e32 v45, v11
	v_xor_b32_e32 v13, 0x80000000, v42
	v_lshl_add_u64 v[22:23], v[22:23], 0, v[44:45]
	global_store_dword v[22:23], v13, off
	ds_read_b32 v13, v19 offset:47104
	v_xor_b32_e32 v15, 0x80000000, v43
	s_waitcnt lgkmcnt(1)
	v_lshl_add_u64 v[42:43], v[48:49], 2, s[58:59]
	v_or_b32_e32 v22, 0x2800, v2
	v_lshlrev_b32_e32 v44, 2, v22
	s_waitcnt lgkmcnt(0)
	v_lshrrev_b32_e32 v17, s68, v13
	v_and_b32_e32 v17, s14, v17
	v_lshlrev_b32_e32 v48, 3, v17
	ds_read_b64 v[46:47], v48
	v_lshl_add_u64 v[42:43], v[42:43], 0, v[44:45]
	v_or_b32_e32 v24, 0x2c00, v2
	s_add_u32 s0, s60, s54
	global_store_dword v[42:43], v15, off
	s_waitcnt lgkmcnt(0)
	v_lshl_add_u64 v[42:43], v[46:47], 2, s[58:59]
	v_lshlrev_b32_e32 v44, 2, v24
	s_addc_u32 s1, s61, 0
	v_xor_b32_e32 v13, 0x80000000, v13
	v_lshl_add_u64 v[42:43], v[42:43], 0, v[44:45]
	v_lshl_add_u64 v[4:5], s[0:1], 0, v[4:5]
	global_store_dword v[42:43], v13, off
	v_lshl_add_u64 v[4:5], v[4:5], 0, v[6:7]
	global_load_ubyte v6, v[4:5], off
	global_load_ubyte v7, v[4:5], off offset:64
	global_load_ubyte v42, v[4:5], off offset:128
	;; [unrolled: 1-line block ×11, first 2 shown]
	s_barrier
	v_mov_b32_e32 v13, v11
	v_mov_b32_e32 v15, v11
	;; [unrolled: 1-line block ×6, first 2 shown]
	s_add_i32 s3, s3, -1
	s_cmp_eq_u32 s2, s3
	s_cselect_b64 s[0:1], -1, 0
	s_and_b64 s[2:3], vcc, s[0:1]
	s_waitcnt vmcnt(11)
	ds_write_b8 v9, v6 offset:2048
	s_waitcnt vmcnt(10)
	ds_write_b8 v25, v7 offset:2048
	;; [unrolled: 2-line block ×12, first 2 shown]
	s_waitcnt lgkmcnt(0)
	s_barrier
	ds_read_b64 v[4:5], v36
	ds_read_b64 v[6:7], v31
	;; [unrolled: 1-line block ×4, first 2 shown]
	ds_read_u8 v9, v2 offset:2048
	ds_read_u8 v27, v2 offset:3072
	;; [unrolled: 1-line block ×8, first 2 shown]
	v_mov_b32_e32 v25, v11
	s_waitcnt lgkmcnt(11)
	v_lshl_add_u64 v[4:5], s[62:63], 0, v[4:5]
	v_lshl_add_u64 v[4:5], v[4:5], 0, v[2:3]
	s_waitcnt lgkmcnt(7)
	global_store_byte v[4:5], v9, off
	v_lshl_add_u64 v[4:5], s[62:63], 0, v[6:7]
	v_lshl_add_u64 v[4:5], v[4:5], 0, v[2:3]
	s_waitcnt lgkmcnt(6)
	global_store_byte v[4:5], v27, off offset:1024
	v_lshl_add_u64 v[4:5], s[62:63], 0, v[28:29]
	v_lshl_add_u64 v[4:5], v[4:5], 0, v[2:3]
	s_waitcnt lgkmcnt(5)
	global_store_byte v[4:5], v31, off offset:2048
	v_lshl_add_u64 v[4:5], s[62:63], 0, v[32:33]
	v_lshl_add_u64 v[4:5], v[4:5], 0, v[2:3]
	ds_read_b64 v[6:7], v30
	s_waitcnt lgkmcnt(5)
	global_store_byte v[4:5], v34, off offset:3072
	ds_read_b64 v[4:5], v26
	ds_read_b64 v[26:27], v52
	ds_read_b64 v[28:29], v53
	s_waitcnt lgkmcnt(3)
	v_lshl_add_u64 v[6:7], s[62:63], 0, v[6:7]
	s_waitcnt lgkmcnt(2)
	v_lshl_add_u64 v[4:5], s[62:63], 0, v[4:5]
	v_lshl_add_u64 v[6:7], v[6:7], 0, v[10:11]
	;; [unrolled: 1-line block ×3, first 2 shown]
	global_store_byte v[6:7], v35, off
	global_store_byte v[4:5], v36, off
	s_waitcnt lgkmcnt(1)
	v_lshl_add_u64 v[4:5], s[62:63], 0, v[26:27]
	v_lshl_add_u64 v[4:5], v[4:5], 0, v[14:15]
	global_store_byte v[4:5], v37, off
	s_waitcnt lgkmcnt(0)
	v_lshl_add_u64 v[4:5], s[62:63], 0, v[28:29]
	v_lshl_add_u64 v[4:5], v[4:5], 0, v[16:17]
	ds_read_b64 v[6:7], v54
	global_store_byte v[4:5], v38, off
	ds_read_b64 v[4:5], v55
	ds_read_b64 v[12:13], v56
	;; [unrolled: 1-line block ×3, first 2 shown]
	ds_read_u8 v9, v2 offset:10240
	ds_read_u8 v10, v2 offset:11264
	;; [unrolled: 1-line block ×4, first 2 shown]
	s_waitcnt lgkmcnt(7)
	v_lshl_add_u64 v[6:7], s[62:63], 0, v[6:7]
	s_waitcnt lgkmcnt(6)
	v_lshl_add_u64 v[4:5], s[62:63], 0, v[4:5]
	v_lshl_add_u64 v[6:7], v[6:7], 0, v[18:19]
	;; [unrolled: 1-line block ×3, first 2 shown]
	s_waitcnt lgkmcnt(3)
	global_store_byte v[6:7], v9, off
	s_waitcnt lgkmcnt(2)
	global_store_byte v[4:5], v10, off
	v_lshl_add_u64 v[4:5], s[62:63], 0, v[12:13]
	v_lshl_add_u64 v[4:5], v[4:5], 0, v[22:23]
	s_waitcnt lgkmcnt(1)
	global_store_byte v[4:5], v16, off
	v_lshl_add_u64 v[4:5], s[62:63], 0, v[14:15]
	v_lshl_add_u64 v[4:5], v[4:5], 0, v[24:25]
	s_waitcnt lgkmcnt(0)
	global_store_byte v[4:5], v17, off
                                        ; implicit-def: $vgpr4_vgpr5
	s_and_saveexec_b64 s[0:1], s[2:3]
; %bb.183:
	v_mov_b32_e32 v9, v11
	v_lshl_add_u64 v[4:5], v[0:1], 0, v[8:9]
	s_or_b64 s[10:11], s[10:11], exec
; %bb.184:
	s_or_b64 exec, exec, s[0:1]
.LBB25_185:
	s_and_saveexec_b64 s[0:1], s[10:11]
	s_cbranch_execnz .LBB25_187
; %bb.186:
	s_endpgm
.LBB25_187:
	v_lshlrev_b32_e32 v0, 3, v2
	ds_read_b64 v[0:1], v0
	v_mov_b32_e32 v6, s66
	v_mov_b32_e32 v7, s67
	v_lshl_add_u64 v[2:3], v[2:3], 3, v[6:7]
	s_waitcnt lgkmcnt(0)
	v_lshl_add_u64 v[0:1], v[0:1], 0, v[4:5]
	global_store_dwordx2 v[2:3], v[0:1], off
	s_endpgm
.LBB25_188:
	global_load_ubyte v3, v[4:5], off
	s_or_b64 exec, exec, s[70:71]
                                        ; implicit-def: $vgpr6
	s_and_saveexec_b64 s[70:71], s[52:53]
	s_cbranch_execz .LBB25_95
.LBB25_189:
	global_load_ubyte v6, v[4:5], off offset:64
	s_or_b64 exec, exec, s[70:71]
                                        ; implicit-def: $vgpr7
	s_and_saveexec_b64 s[52:53], s[4:5]
	s_cbranch_execz .LBB25_96
.LBB25_190:
	global_load_ubyte v7, v[4:5], off offset:128
	s_or_b64 exec, exec, s[52:53]
                                        ; implicit-def: $vgpr13
	s_and_saveexec_b64 s[4:5], s[6:7]
	s_cbranch_execz .LBB25_97
.LBB25_191:
	global_load_ubyte v13, v[4:5], off offset:192
	s_or_b64 exec, exec, s[4:5]
                                        ; implicit-def: $vgpr15
	s_and_saveexec_b64 s[4:5], s[8:9]
	s_cbranch_execz .LBB25_98
.LBB25_192:
	global_load_ubyte v15, v[4:5], off offset:256
	s_or_b64 exec, exec, s[4:5]
                                        ; implicit-def: $vgpr17
	s_and_saveexec_b64 s[4:5], s[10:11]
	s_cbranch_execz .LBB25_99
.LBB25_193:
	global_load_ubyte v17, v[4:5], off offset:320
	s_or_b64 exec, exec, s[4:5]
                                        ; implicit-def: $vgpr19
	s_and_saveexec_b64 s[4:5], s[12:13]
	s_cbranch_execz .LBB25_100
.LBB25_194:
	global_load_ubyte v19, v[4:5], off offset:384
	s_or_b64 exec, exec, s[4:5]
                                        ; implicit-def: $vgpr23
	s_and_saveexec_b64 s[4:5], s[14:15]
	s_cbranch_execz .LBB25_101
.LBB25_195:
	global_load_ubyte v23, v[4:5], off offset:448
	s_or_b64 exec, exec, s[4:5]
                                        ; implicit-def: $vgpr38
	s_and_saveexec_b64 s[4:5], s[16:17]
	s_cbranch_execz .LBB25_102
.LBB25_196:
	global_load_ubyte v38, v[4:5], off offset:512
	s_or_b64 exec, exec, s[4:5]
                                        ; implicit-def: $vgpr41
	s_and_saveexec_b64 s[4:5], s[18:19]
	s_cbranch_execz .LBB25_103
.LBB25_197:
	global_load_ubyte v41, v[4:5], off offset:576
	s_or_b64 exec, exec, s[4:5]
                                        ; implicit-def: $vgpr44
	s_and_saveexec_b64 s[4:5], s[20:21]
	s_cbranch_execz .LBB25_104
.LBB25_198:
	global_load_ubyte v44, v[4:5], off offset:640
	s_or_b64 exec, exec, s[4:5]
                                        ; implicit-def: $vgpr48
	s_and_saveexec_b64 s[4:5], s[22:23]
	s_cbranch_execz .LBB25_105
.LBB25_199:
	global_load_ubyte v48, v[4:5], off offset:704
	s_or_b64 exec, exec, s[4:5]
                                        ; implicit-def: $vgpr49
	s_and_saveexec_b64 s[4:5], s[26:27]
	s_cbranch_execz .LBB25_106
.LBB25_200:
	ds_read_b32 v4, v12 offset:2048
	s_waitcnt lgkmcnt(0)
	v_lshrrev_b32_e32 v4, s68, v4
	v_and_b32_e32 v49, s33, v4
	s_or_b64 exec, exec, s[4:5]
                                        ; implicit-def: $vgpr47
	s_and_saveexec_b64 s[4:5], s[28:29]
	s_cbranch_execz .LBB25_107
.LBB25_201:
	ds_read_b32 v4, v12 offset:6144
	s_waitcnt lgkmcnt(0)
	v_lshrrev_b32_e32 v4, s68, v4
	v_and_b32_e32 v47, s33, v4
	s_or_b64 exec, exec, s[4:5]
                                        ; implicit-def: $vgpr46
	s_and_saveexec_b64 s[4:5], s[30:31]
	s_cbranch_execz .LBB25_108
.LBB25_202:
	ds_read_b32 v4, v12 offset:10240
	s_waitcnt lgkmcnt(0)
	v_lshrrev_b32_e32 v4, s68, v4
	v_and_b32_e32 v46, s33, v4
	s_or_b64 exec, exec, s[4:5]
                                        ; implicit-def: $vgpr45
	s_and_saveexec_b64 s[4:5], s[34:35]
	s_cbranch_execz .LBB25_109
.LBB25_203:
	ds_read_b32 v4, v12 offset:14336
	s_waitcnt lgkmcnt(0)
	v_lshrrev_b32_e32 v4, s68, v4
	v_and_b32_e32 v45, s33, v4
	s_or_b64 exec, exec, s[4:5]
                                        ; implicit-def: $vgpr43
	s_and_saveexec_b64 s[4:5], s[36:37]
	s_cbranch_execz .LBB25_110
.LBB25_204:
	ds_read_b32 v4, v12 offset:18432
	s_waitcnt lgkmcnt(0)
	v_lshrrev_b32_e32 v4, s68, v4
	v_and_b32_e32 v43, s33, v4
	s_or_b64 exec, exec, s[4:5]
                                        ; implicit-def: $vgpr42
	s_and_saveexec_b64 s[4:5], s[38:39]
	s_cbranch_execz .LBB25_111
.LBB25_205:
	ds_read_b32 v4, v12 offset:22528
	s_waitcnt lgkmcnt(0)
	v_lshrrev_b32_e32 v4, s68, v4
	v_and_b32_e32 v42, s33, v4
	s_or_b64 exec, exec, s[4:5]
                                        ; implicit-def: $vgpr40
	s_and_saveexec_b64 s[4:5], s[40:41]
	s_cbranch_execz .LBB25_112
.LBB25_206:
	ds_read_b32 v4, v12 offset:26624
	s_waitcnt lgkmcnt(0)
	v_lshrrev_b32_e32 v4, s68, v4
	v_and_b32_e32 v40, s33, v4
	s_or_b64 exec, exec, s[4:5]
                                        ; implicit-def: $vgpr39
	s_and_saveexec_b64 s[4:5], s[42:43]
	s_cbranch_execz .LBB25_113
.LBB25_207:
	ds_read_b32 v4, v12 offset:30720
	s_waitcnt lgkmcnt(0)
	v_lshrrev_b32_e32 v4, s68, v4
	v_and_b32_e32 v39, s33, v4
	s_or_b64 exec, exec, s[4:5]
                                        ; implicit-def: $vgpr34
	s_and_saveexec_b64 s[4:5], s[44:45]
	s_cbranch_execnz .LBB25_114
	s_branch .LBB25_115
.LBB25_208:
	ds_read_b32 v5, v12 offset:38912
	s_waitcnt lgkmcnt(0)
	v_lshrrev_b32_e32 v5, s68, v5
	v_and_b32_e32 v29, s33, v5
	s_or_b64 exec, exec, s[4:5]
	s_and_saveexec_b64 s[4:5], s[48:49]
	s_cbranch_execz .LBB25_117
.LBB25_209:
	ds_read_b32 v4, v12 offset:43008
	s_waitcnt lgkmcnt(0)
	v_lshrrev_b32_e32 v4, s68, v4
	v_and_b32_e32 v4, s33, v4
	s_or_b64 exec, exec, s[4:5]
	v_mov_b32_e32 v5, 0
	s_and_saveexec_b64 s[4:5], s[50:51]
	s_cbranch_execnz .LBB25_118
	s_branch .LBB25_119
.LBB25_210:
	v_lshlrev_b32_e32 v3, 3, v49
	ds_read_b64 v[6:7], v3
	ds_read_u8 v9, v2 offset:2048
	v_mov_b32_e32 v3, 0
	s_waitcnt lgkmcnt(1)
	v_lshl_add_u64 v[6:7], s[62:63], 0, v[6:7]
	v_lshl_add_u64 v[6:7], v[6:7], 0, v[2:3]
	s_waitcnt lgkmcnt(0)
	global_store_byte v[6:7], v9, off
	s_or_b64 exec, exec, s[4:5]
	s_and_saveexec_b64 s[4:5], s[28:29]
	s_cbranch_execz .LBB25_121
.LBB25_211:
	v_lshlrev_b32_e32 v3, 3, v47
	ds_read_b64 v[6:7], v3
	ds_read_u8 v9, v2 offset:3072
	v_mov_b32_e32 v3, 0
	s_waitcnt lgkmcnt(1)
	v_lshl_add_u64 v[6:7], s[62:63], 0, v[6:7]
	v_lshl_add_u64 v[6:7], v[6:7], 0, v[2:3]
	s_waitcnt lgkmcnt(0)
	global_store_byte v[6:7], v9, off offset:1024
	s_or_b64 exec, exec, s[4:5]
	s_and_saveexec_b64 s[4:5], s[30:31]
	s_cbranch_execz .LBB25_122
.LBB25_212:
	v_lshlrev_b32_e32 v3, 3, v46
	ds_read_b64 v[6:7], v3
	ds_read_u8 v9, v2 offset:4096
	v_mov_b32_e32 v3, 0
	s_waitcnt lgkmcnt(1)
	v_lshl_add_u64 v[6:7], s[62:63], 0, v[6:7]
	v_lshl_add_u64 v[6:7], v[6:7], 0, v[2:3]
	s_waitcnt lgkmcnt(0)
	global_store_byte v[6:7], v9, off offset:2048
	s_or_b64 exec, exec, s[4:5]
	s_and_saveexec_b64 s[4:5], s[34:35]
	s_cbranch_execz .LBB25_123
.LBB25_213:
	v_lshlrev_b32_e32 v3, 3, v45
	ds_read_b64 v[6:7], v3
	ds_read_u8 v9, v2 offset:5120
	v_mov_b32_e32 v3, 0
	s_waitcnt lgkmcnt(1)
	v_lshl_add_u64 v[6:7], s[62:63], 0, v[6:7]
	v_lshl_add_u64 v[6:7], v[6:7], 0, v[2:3]
	s_waitcnt lgkmcnt(0)
	global_store_byte v[6:7], v9, off offset:3072
	s_or_b64 exec, exec, s[4:5]
	s_and_saveexec_b64 s[4:5], s[36:37]
	s_cbranch_execz .LBB25_124
.LBB25_214:
	v_lshlrev_b32_e32 v3, 3, v43
	ds_read_b64 v[6:7], v3
	ds_read_u8 v3, v2 offset:6144
	v_mov_b32_e32 v15, 0
	s_waitcnt lgkmcnt(1)
	v_lshl_add_u64 v[6:7], s[62:63], 0, v[6:7]
	v_lshl_add_u64 v[6:7], v[6:7], 0, v[14:15]
	s_waitcnt lgkmcnt(0)
	global_store_byte v[6:7], v3, off
	s_or_b64 exec, exec, s[4:5]
	s_and_saveexec_b64 s[4:5], s[38:39]
	s_cbranch_execz .LBB25_125
.LBB25_215:
	v_lshlrev_b32_e32 v3, 3, v42
	ds_read_b64 v[6:7], v3
	ds_read_u8 v3, v2 offset:7168
	v_mov_b32_e32 v17, 0
	s_waitcnt lgkmcnt(1)
	v_lshl_add_u64 v[6:7], s[62:63], 0, v[6:7]
	v_lshl_add_u64 v[6:7], v[6:7], 0, v[16:17]
	s_waitcnt lgkmcnt(0)
	global_store_byte v[6:7], v3, off
	s_or_b64 exec, exec, s[4:5]
	s_and_saveexec_b64 s[4:5], s[40:41]
	s_cbranch_execz .LBB25_126
.LBB25_216:
	v_lshlrev_b32_e32 v3, 3, v40
	ds_read_b64 v[6:7], v3
	ds_read_u8 v3, v2 offset:8192
	v_mov_b32_e32 v19, 0
	s_waitcnt lgkmcnt(1)
	v_lshl_add_u64 v[6:7], s[62:63], 0, v[6:7]
	v_lshl_add_u64 v[6:7], v[6:7], 0, v[18:19]
	s_waitcnt lgkmcnt(0)
	global_store_byte v[6:7], v3, off
	s_or_b64 exec, exec, s[4:5]
	s_and_saveexec_b64 s[4:5], s[42:43]
	s_cbranch_execz .LBB25_127
.LBB25_217:
	v_lshlrev_b32_e32 v3, 3, v39
	ds_read_b64 v[6:7], v3
	ds_read_u8 v3, v2 offset:9216
	v_mov_b32_e32 v21, 0
	s_waitcnt lgkmcnt(1)
	v_lshl_add_u64 v[6:7], s[62:63], 0, v[6:7]
	v_lshl_add_u64 v[6:7], v[6:7], 0, v[20:21]
	s_waitcnt lgkmcnt(0)
	global_store_byte v[6:7], v3, off
	s_or_b64 exec, exec, s[4:5]
	s_and_saveexec_b64 s[4:5], s[44:45]
	s_cbranch_execz .LBB25_128
.LBB25_218:
	v_lshlrev_b32_e32 v3, 3, v34
	ds_read_b64 v[6:7], v3
	ds_read_u8 v3, v2 offset:10240
	v_mov_b32_e32 v23, 0
	s_waitcnt lgkmcnt(1)
	v_lshl_add_u64 v[6:7], s[62:63], 0, v[6:7]
	v_lshl_add_u64 v[6:7], v[6:7], 0, v[22:23]
	s_waitcnt lgkmcnt(0)
	global_store_byte v[6:7], v3, off
	s_or_b64 exec, exec, s[4:5]
	s_and_saveexec_b64 s[4:5], s[46:47]
	s_cbranch_execz .LBB25_129
.LBB25_219:
	v_lshlrev_b32_e32 v3, 3, v29
	ds_read_b64 v[6:7], v3
	ds_read_u8 v3, v2 offset:11264
	v_mov_b32_e32 v25, 0
	s_waitcnt lgkmcnt(1)
	v_lshl_add_u64 v[6:7], s[62:63], 0, v[6:7]
	v_lshl_add_u64 v[6:7], v[6:7], 0, v[24:25]
	s_waitcnt lgkmcnt(0)
	global_store_byte v[6:7], v3, off
	s_or_b64 exec, exec, s[4:5]
	s_and_saveexec_b64 s[4:5], s[48:49]
	s_cbranch_execz .LBB25_130
.LBB25_220:
	v_lshlrev_b32_e32 v3, 3, v4
	ds_read_b64 v[6:7], v3
	ds_read_u8 v3, v2 offset:12288
	v_mov_b32_e32 v27, 0
	s_waitcnt lgkmcnt(1)
	v_lshl_add_u64 v[6:7], s[62:63], 0, v[6:7]
	v_lshl_add_u64 v[6:7], v[6:7], 0, v[26:27]
	s_waitcnt lgkmcnt(0)
	global_store_byte v[6:7], v3, off
	s_or_b64 exec, exec, s[4:5]
	s_and_saveexec_b64 s[4:5], s[50:51]
	s_cbranch_execnz .LBB25_131
	s_branch .LBB25_132
	.section	.rodata,"a",@progbits
	.p2align	6, 0x0
	.amdhsa_kernel _ZN7rocprim17ROCPRIM_304000_NS6detail25onesweep_iteration_kernelINS1_34wrapped_radix_sort_onesweep_configINS0_14default_configEiN2at4cuda3cub6detail10OpaqueTypeILi1EEEEELb0EPiSC_PSA_SD_mNS0_19identity_decomposerEEEvT1_T2_T3_T4_jPT5_SK_PNS1_23onesweep_lookback_stateET6_jjj
		.amdhsa_group_segment_fixed_size 51200
		.amdhsa_private_segment_fixed_size 0
		.amdhsa_kernarg_size 336
		.amdhsa_user_sgpr_count 2
		.amdhsa_user_sgpr_dispatch_ptr 0
		.amdhsa_user_sgpr_queue_ptr 0
		.amdhsa_user_sgpr_kernarg_segment_ptr 1
		.amdhsa_user_sgpr_dispatch_id 0
		.amdhsa_user_sgpr_kernarg_preload_length 0
		.amdhsa_user_sgpr_kernarg_preload_offset 0
		.amdhsa_user_sgpr_private_segment_size 0
		.amdhsa_uses_dynamic_stack 0
		.amdhsa_enable_private_segment 0
		.amdhsa_system_sgpr_workgroup_id_x 1
		.amdhsa_system_sgpr_workgroup_id_y 0
		.amdhsa_system_sgpr_workgroup_id_z 0
		.amdhsa_system_sgpr_workgroup_info 0
		.amdhsa_system_vgpr_workitem_id 2
		.amdhsa_next_free_vgpr 64
		.amdhsa_next_free_sgpr 74
		.amdhsa_accum_offset 64
		.amdhsa_reserve_vcc 1
		.amdhsa_float_round_mode_32 0
		.amdhsa_float_round_mode_16_64 0
		.amdhsa_float_denorm_mode_32 3
		.amdhsa_float_denorm_mode_16_64 3
		.amdhsa_dx10_clamp 1
		.amdhsa_ieee_mode 1
		.amdhsa_fp16_overflow 0
		.amdhsa_tg_split 0
		.amdhsa_exception_fp_ieee_invalid_op 0
		.amdhsa_exception_fp_denorm_src 0
		.amdhsa_exception_fp_ieee_div_zero 0
		.amdhsa_exception_fp_ieee_overflow 0
		.amdhsa_exception_fp_ieee_underflow 0
		.amdhsa_exception_fp_ieee_inexact 0
		.amdhsa_exception_int_div_zero 0
	.end_amdhsa_kernel
	.section	.text._ZN7rocprim17ROCPRIM_304000_NS6detail25onesweep_iteration_kernelINS1_34wrapped_radix_sort_onesweep_configINS0_14default_configEiN2at4cuda3cub6detail10OpaqueTypeILi1EEEEELb0EPiSC_PSA_SD_mNS0_19identity_decomposerEEEvT1_T2_T3_T4_jPT5_SK_PNS1_23onesweep_lookback_stateET6_jjj,"axG",@progbits,_ZN7rocprim17ROCPRIM_304000_NS6detail25onesweep_iteration_kernelINS1_34wrapped_radix_sort_onesweep_configINS0_14default_configEiN2at4cuda3cub6detail10OpaqueTypeILi1EEEEELb0EPiSC_PSA_SD_mNS0_19identity_decomposerEEEvT1_T2_T3_T4_jPT5_SK_PNS1_23onesweep_lookback_stateET6_jjj,comdat
.Lfunc_end25:
	.size	_ZN7rocprim17ROCPRIM_304000_NS6detail25onesweep_iteration_kernelINS1_34wrapped_radix_sort_onesweep_configINS0_14default_configEiN2at4cuda3cub6detail10OpaqueTypeILi1EEEEELb0EPiSC_PSA_SD_mNS0_19identity_decomposerEEEvT1_T2_T3_T4_jPT5_SK_PNS1_23onesweep_lookback_stateET6_jjj, .Lfunc_end25-_ZN7rocprim17ROCPRIM_304000_NS6detail25onesweep_iteration_kernelINS1_34wrapped_radix_sort_onesweep_configINS0_14default_configEiN2at4cuda3cub6detail10OpaqueTypeILi1EEEEELb0EPiSC_PSA_SD_mNS0_19identity_decomposerEEEvT1_T2_T3_T4_jPT5_SK_PNS1_23onesweep_lookback_stateET6_jjj
                                        ; -- End function
	.section	.AMDGPU.csdata,"",@progbits
; Kernel info:
; codeLenInByte = 19240
; NumSgprs: 80
; NumVgprs: 64
; NumAgprs: 0
; TotalNumVgprs: 64
; ScratchSize: 0
; MemoryBound: 0
; FloatMode: 240
; IeeeMode: 1
; LDSByteSize: 51200 bytes/workgroup (compile time only)
; SGPRBlocks: 9
; VGPRBlocks: 7
; NumSGPRsForWavesPerEU: 80
; NumVGPRsForWavesPerEU: 64
; AccumOffset: 64
; Occupancy: 4
; WaveLimiterHint : 1
; COMPUTE_PGM_RSRC2:SCRATCH_EN: 0
; COMPUTE_PGM_RSRC2:USER_SGPR: 2
; COMPUTE_PGM_RSRC2:TRAP_HANDLER: 0
; COMPUTE_PGM_RSRC2:TGID_X_EN: 1
; COMPUTE_PGM_RSRC2:TGID_Y_EN: 0
; COMPUTE_PGM_RSRC2:TGID_Z_EN: 0
; COMPUTE_PGM_RSRC2:TIDIG_COMP_CNT: 2
; COMPUTE_PGM_RSRC3_GFX90A:ACCUM_OFFSET: 15
; COMPUTE_PGM_RSRC3_GFX90A:TG_SPLIT: 0
	.text
	.p2alignl 6, 3212836864
	.fill 256, 4, 3212836864
	.type	__hip_cuid_1b43ef616c1e6a5d,@object ; @__hip_cuid_1b43ef616c1e6a5d
	.section	.bss,"aw",@nobits
	.globl	__hip_cuid_1b43ef616c1e6a5d
__hip_cuid_1b43ef616c1e6a5d:
	.byte	0                               ; 0x0
	.size	__hip_cuid_1b43ef616c1e6a5d, 1

	.ident	"AMD clang version 19.0.0git (https://github.com/RadeonOpenCompute/llvm-project roc-6.4.0 25133 c7fe45cf4b819c5991fe208aaa96edf142730f1d)"
	.section	".note.GNU-stack","",@progbits
	.addrsig
	.addrsig_sym __hip_cuid_1b43ef616c1e6a5d
	.amdgpu_metadata
---
amdhsa.kernels:
  - .agpr_count:     0
    .args:
      - .address_space:  global
        .offset:         0
        .size:           8
        .value_kind:     global_buffer
      - .address_space:  global
        .offset:         8
        .size:           8
        .value_kind:     global_buffer
      - .address_space:  global
        .offset:         16
        .size:           8
        .value_kind:     global_buffer
      - .address_space:  global
        .offset:         24
        .size:           8
        .value_kind:     global_buffer
      - .offset:         32
        .size:           4
        .value_kind:     by_value
      - .offset:         36
        .size:           1
        .value_kind:     by_value
      - .offset:         40
        .size:           4
        .value_kind:     by_value
      - .offset:         44
        .size:           4
        .value_kind:     by_value
      - .offset:         48
        .size:           4
        .value_kind:     hidden_block_count_x
      - .offset:         52
        .size:           4
        .value_kind:     hidden_block_count_y
      - .offset:         56
        .size:           4
        .value_kind:     hidden_block_count_z
      - .offset:         60
        .size:           2
        .value_kind:     hidden_group_size_x
      - .offset:         62
        .size:           2
        .value_kind:     hidden_group_size_y
      - .offset:         64
        .size:           2
        .value_kind:     hidden_group_size_z
      - .offset:         66
        .size:           2
        .value_kind:     hidden_remainder_x
      - .offset:         68
        .size:           2
        .value_kind:     hidden_remainder_y
      - .offset:         70
        .size:           2
        .value_kind:     hidden_remainder_z
      - .offset:         88
        .size:           8
        .value_kind:     hidden_global_offset_x
      - .offset:         96
        .size:           8
        .value_kind:     hidden_global_offset_y
      - .offset:         104
        .size:           8
        .value_kind:     hidden_global_offset_z
      - .offset:         112
        .size:           2
        .value_kind:     hidden_grid_dims
    .group_segment_fixed_size: 4112
    .kernarg_segment_align: 8
    .kernarg_segment_size: 304
    .language:       OpenCL C
    .language_version:
      - 2
      - 0
    .max_flat_workgroup_size: 256
    .name:           _ZN7rocprim17ROCPRIM_304000_NS6detail28radix_sort_block_sort_kernelINS1_36wrapped_radix_sort_block_sort_configINS0_13kernel_configILj256ELj4ELj4294967295EEEiN2at4cuda3cub6detail10OpaqueTypeILi1EEEEELb1EPKiPiPKSB_PSB_NS0_19identity_decomposerEEEvT1_T2_T3_T4_jT5_jj
    .private_segment_fixed_size: 0
    .sgpr_count:     52
    .sgpr_spill_count: 0
    .symbol:         _ZN7rocprim17ROCPRIM_304000_NS6detail28radix_sort_block_sort_kernelINS1_36wrapped_radix_sort_block_sort_configINS0_13kernel_configILj256ELj4ELj4294967295EEEiN2at4cuda3cub6detail10OpaqueTypeILi1EEEEELb1EPKiPiPKSB_PSB_NS0_19identity_decomposerEEEvT1_T2_T3_T4_jT5_jj.kd
    .uniform_work_group_size: 1
    .uses_dynamic_stack: false
    .vgpr_count:     47
    .vgpr_spill_count: 0
    .wavefront_size: 64
  - .agpr_count:     0
    .args:           []
    .group_segment_fixed_size: 0
    .kernarg_segment_align: 4
    .kernarg_segment_size: 0
    .language:       OpenCL C
    .language_version:
      - 2
      - 0
    .max_flat_workgroup_size: 1024
    .name:           _ZN7rocprim17ROCPRIM_304000_NS6detail39device_merge_sort_compile_time_verifierINS1_36wrapped_merge_sort_block_sort_configINS1_28merge_sort_block_sort_configILj256ELj4ELNS0_20block_sort_algorithmE0EEEiN2at4cuda3cub6detail10OpaqueTypeILi1EEEEENS1_37wrapped_merge_sort_block_merge_configINS0_14default_configEiSC_EEEEvv
    .private_segment_fixed_size: 0
    .sgpr_count:     6
    .sgpr_spill_count: 0
    .symbol:         _ZN7rocprim17ROCPRIM_304000_NS6detail39device_merge_sort_compile_time_verifierINS1_36wrapped_merge_sort_block_sort_configINS1_28merge_sort_block_sort_configILj256ELj4ELNS0_20block_sort_algorithmE0EEEiN2at4cuda3cub6detail10OpaqueTypeILi1EEEEENS1_37wrapped_merge_sort_block_merge_configINS0_14default_configEiSC_EEEEvv.kd
    .uniform_work_group_size: 1
    .uses_dynamic_stack: false
    .vgpr_count:     0
    .vgpr_spill_count: 0
    .wavefront_size: 64
  - .agpr_count:     0
    .args:
      - .address_space:  global
        .offset:         0
        .size:           8
        .value_kind:     global_buffer
      - .offset:         8
        .size:           4
        .value_kind:     by_value
      - .offset:         12
        .size:           4
        .value_kind:     by_value
      - .address_space:  global
        .offset:         16
        .size:           8
        .value_kind:     global_buffer
      - .offset:         24
        .size:           1
        .value_kind:     by_value
      - .offset:         28
        .size:           4
        .value_kind:     by_value
    .group_segment_fixed_size: 0
    .kernarg_segment_align: 8
    .kernarg_segment_size: 32
    .language:       OpenCL C
    .language_version:
      - 2
      - 0
    .max_flat_workgroup_size: 128
    .name:           _ZN7rocprim17ROCPRIM_304000_NS6detail45device_block_merge_mergepath_partition_kernelINS1_37wrapped_merge_sort_block_merge_configINS0_14default_configEiN2at4cuda3cub6detail10OpaqueTypeILi1EEEEEPijNS1_19radix_merge_compareILb1ELb0EiNS0_19identity_decomposerEEEEEvT0_T1_jPSH_T2_SH_
    .private_segment_fixed_size: 0
    .sgpr_count:     12
    .sgpr_spill_count: 0
    .symbol:         _ZN7rocprim17ROCPRIM_304000_NS6detail45device_block_merge_mergepath_partition_kernelINS1_37wrapped_merge_sort_block_merge_configINS0_14default_configEiN2at4cuda3cub6detail10OpaqueTypeILi1EEEEEPijNS1_19radix_merge_compareILb1ELb0EiNS0_19identity_decomposerEEEEEvT0_T1_jPSH_T2_SH_.kd
    .uniform_work_group_size: 1
    .uses_dynamic_stack: false
    .vgpr_count:     17
    .vgpr_spill_count: 0
    .wavefront_size: 64
  - .agpr_count:     0
    .args:
      - .address_space:  global
        .offset:         0
        .size:           8
        .value_kind:     global_buffer
      - .address_space:  global
        .offset:         8
        .size:           8
        .value_kind:     global_buffer
      - .address_space:  global
        .offset:         16
        .size:           8
        .value_kind:     global_buffer
      - .address_space:  global
        .offset:         24
        .size:           8
        .value_kind:     global_buffer
      - .offset:         32
        .size:           4
        .value_kind:     by_value
      - .offset:         36
        .size:           4
        .value_kind:     by_value
      - .offset:         40
        .size:           4
        .value_kind:     by_value
      - .offset:         44
        .size:           1
        .value_kind:     by_value
      - .address_space:  global
        .offset:         48
        .size:           8
        .value_kind:     global_buffer
      - .address_space:  global
        .offset:         56
        .size:           8
        .value_kind:     global_buffer
      - .offset:         64
        .size:           4
        .value_kind:     hidden_block_count_x
      - .offset:         68
        .size:           4
        .value_kind:     hidden_block_count_y
      - .offset:         72
        .size:           4
        .value_kind:     hidden_block_count_z
      - .offset:         76
        .size:           2
        .value_kind:     hidden_group_size_x
      - .offset:         78
        .size:           2
        .value_kind:     hidden_group_size_y
      - .offset:         80
        .size:           2
        .value_kind:     hidden_group_size_z
      - .offset:         82
        .size:           2
        .value_kind:     hidden_remainder_x
      - .offset:         84
        .size:           2
        .value_kind:     hidden_remainder_y
      - .offset:         86
        .size:           2
        .value_kind:     hidden_remainder_z
      - .offset:         104
        .size:           8
        .value_kind:     hidden_global_offset_x
      - .offset:         112
        .size:           8
        .value_kind:     hidden_global_offset_y
      - .offset:         120
        .size:           8
        .value_kind:     hidden_global_offset_z
      - .offset:         128
        .size:           2
        .value_kind:     hidden_grid_dims
    .group_segment_fixed_size: 4224
    .kernarg_segment_align: 8
    .kernarg_segment_size: 320
    .language:       OpenCL C
    .language_version:
      - 2
      - 0
    .max_flat_workgroup_size: 128
    .name:           _ZN7rocprim17ROCPRIM_304000_NS6detail35device_block_merge_mergepath_kernelINS1_37wrapped_merge_sort_block_merge_configINS0_14default_configEiN2at4cuda3cub6detail10OpaqueTypeILi1EEEEEPiSC_PSA_SD_jNS1_19radix_merge_compareILb1ELb0EiNS0_19identity_decomposerEEEEEvT0_T1_T2_T3_T4_SL_jT5_PKSL_NS1_7vsmem_tE
    .private_segment_fixed_size: 0
    .sgpr_count:     40
    .sgpr_spill_count: 0
    .symbol:         _ZN7rocprim17ROCPRIM_304000_NS6detail35device_block_merge_mergepath_kernelINS1_37wrapped_merge_sort_block_merge_configINS0_14default_configEiN2at4cuda3cub6detail10OpaqueTypeILi1EEEEEPiSC_PSA_SD_jNS1_19radix_merge_compareILb1ELb0EiNS0_19identity_decomposerEEEEEvT0_T1_T2_T3_T4_SL_jT5_PKSL_NS1_7vsmem_tE.kd
    .uniform_work_group_size: 1
    .uses_dynamic_stack: false
    .vgpr_count:     35
    .vgpr_spill_count: 0
    .wavefront_size: 64
  - .agpr_count:     0
    .args:
      - .address_space:  global
        .offset:         0
        .size:           8
        .value_kind:     global_buffer
      - .address_space:  global
        .offset:         8
        .size:           8
        .value_kind:     global_buffer
      - .address_space:  global
        .offset:         16
        .size:           8
        .value_kind:     global_buffer
      - .address_space:  global
        .offset:         24
        .size:           8
        .value_kind:     global_buffer
      - .offset:         32
        .size:           4
        .value_kind:     by_value
      - .offset:         36
        .size:           4
        .value_kind:     by_value
      - .offset:         40
        .size:           1
        .value_kind:     by_value
    .group_segment_fixed_size: 0
    .kernarg_segment_align: 8
    .kernarg_segment_size: 44
    .language:       OpenCL C
    .language_version:
      - 2
      - 0
    .max_flat_workgroup_size: 256
    .name:           _ZN7rocprim17ROCPRIM_304000_NS6detail33device_block_merge_oddeven_kernelINS1_37wrapped_merge_sort_block_merge_configINS0_14default_configEiN2at4cuda3cub6detail10OpaqueTypeILi1EEEEEPiSC_PSA_SD_jNS1_19radix_merge_compareILb1ELb0EiNS0_19identity_decomposerEEEEEvT0_T1_T2_T3_T4_SL_T5_
    .private_segment_fixed_size: 0
    .sgpr_count:     28
    .sgpr_spill_count: 0
    .symbol:         _ZN7rocprim17ROCPRIM_304000_NS6detail33device_block_merge_oddeven_kernelINS1_37wrapped_merge_sort_block_merge_configINS0_14default_configEiN2at4cuda3cub6detail10OpaqueTypeILi1EEEEEPiSC_PSA_SD_jNS1_19radix_merge_compareILb1ELb0EiNS0_19identity_decomposerEEEEEvT0_T1_T2_T3_T4_SL_T5_.kd
    .uniform_work_group_size: 1
    .uses_dynamic_stack: false
    .vgpr_count:     10
    .vgpr_spill_count: 0
    .wavefront_size: 64
  - .agpr_count:     0
    .args:
      - .address_space:  global
        .offset:         0
        .size:           8
        .value_kind:     global_buffer
      - .offset:         8
        .size:           8
        .value_kind:     by_value
      - .address_space:  global
        .offset:         16
        .size:           8
        .value_kind:     global_buffer
      - .offset:         24
        .size:           1
        .value_kind:     by_value
      - .offset:         32
        .size:           4
        .value_kind:     hidden_block_count_x
      - .offset:         36
        .size:           4
        .value_kind:     hidden_block_count_y
      - .offset:         40
        .size:           4
        .value_kind:     hidden_block_count_z
      - .offset:         44
        .size:           2
        .value_kind:     hidden_group_size_x
      - .offset:         46
        .size:           2
        .value_kind:     hidden_group_size_y
      - .offset:         48
        .size:           2
        .value_kind:     hidden_group_size_z
      - .offset:         50
        .size:           2
        .value_kind:     hidden_remainder_x
      - .offset:         52
        .size:           2
        .value_kind:     hidden_remainder_y
      - .offset:         54
        .size:           2
        .value_kind:     hidden_remainder_z
      - .offset:         72
        .size:           8
        .value_kind:     hidden_global_offset_x
      - .offset:         80
        .size:           8
        .value_kind:     hidden_global_offset_y
      - .offset:         88
        .size:           8
        .value_kind:     hidden_global_offset_z
      - .offset:         96
        .size:           2
        .value_kind:     hidden_grid_dims
    .group_segment_fixed_size: 0
    .kernarg_segment_align: 8
    .kernarg_segment_size: 288
    .language:       OpenCL C
    .language_version:
      - 2
      - 0
    .max_flat_workgroup_size: 256
    .name:           _ZN7rocprim17ROCPRIM_304000_NS6detail16transform_kernelINS1_24wrapped_transform_configINS0_14default_configEiEEiPiS6_NS0_8identityIiEEEEvT1_mT2_T3_
    .private_segment_fixed_size: 0
    .sgpr_count:     20
    .sgpr_spill_count: 0
    .symbol:         _ZN7rocprim17ROCPRIM_304000_NS6detail16transform_kernelINS1_24wrapped_transform_configINS0_14default_configEiEEiPiS6_NS0_8identityIiEEEEvT1_mT2_T3_.kd
    .uniform_work_group_size: 1
    .uses_dynamic_stack: false
    .vgpr_count:     10
    .vgpr_spill_count: 0
    .wavefront_size: 64
  - .agpr_count:     0
    .args:
      - .address_space:  global
        .offset:         0
        .size:           8
        .value_kind:     global_buffer
      - .offset:         8
        .size:           8
        .value_kind:     by_value
      - .address_space:  global
        .offset:         16
        .size:           8
        .value_kind:     global_buffer
      - .offset:         24
        .size:           1
        .value_kind:     by_value
      - .offset:         32
        .size:           4
        .value_kind:     hidden_block_count_x
      - .offset:         36
        .size:           4
        .value_kind:     hidden_block_count_y
      - .offset:         40
        .size:           4
        .value_kind:     hidden_block_count_z
      - .offset:         44
        .size:           2
        .value_kind:     hidden_group_size_x
      - .offset:         46
        .size:           2
        .value_kind:     hidden_group_size_y
      - .offset:         48
        .size:           2
        .value_kind:     hidden_group_size_z
      - .offset:         50
        .size:           2
        .value_kind:     hidden_remainder_x
      - .offset:         52
        .size:           2
        .value_kind:     hidden_remainder_y
      - .offset:         54
        .size:           2
        .value_kind:     hidden_remainder_z
      - .offset:         72
        .size:           8
        .value_kind:     hidden_global_offset_x
      - .offset:         80
        .size:           8
        .value_kind:     hidden_global_offset_y
      - .offset:         88
        .size:           8
        .value_kind:     hidden_global_offset_z
      - .offset:         96
        .size:           2
        .value_kind:     hidden_grid_dims
    .group_segment_fixed_size: 0
    .kernarg_segment_align: 8
    .kernarg_segment_size: 288
    .language:       OpenCL C
    .language_version:
      - 2
      - 0
    .max_flat_workgroup_size: 256
    .name:           _ZN7rocprim17ROCPRIM_304000_NS6detail16transform_kernelINS1_24wrapped_transform_configINS0_14default_configEN2at4cuda3cub6detail10OpaqueTypeILi1EEEEESA_PSA_SC_NS0_8identityISA_EEEEvT1_mT2_T3_
    .private_segment_fixed_size: 0
    .sgpr_count:     42
    .sgpr_spill_count: 0
    .symbol:         _ZN7rocprim17ROCPRIM_304000_NS6detail16transform_kernelINS1_24wrapped_transform_configINS0_14default_configEN2at4cuda3cub6detail10OpaqueTypeILi1EEEEESA_PSA_SC_NS0_8identityISA_EEEEvT1_mT2_T3_.kd
    .uniform_work_group_size: 1
    .uses_dynamic_stack: false
    .vgpr_count:     22
    .vgpr_spill_count: 0
    .wavefront_size: 64
  - .agpr_count:     0
    .args:
      - .address_space:  global
        .offset:         0
        .size:           8
        .value_kind:     global_buffer
      - .offset:         8
        .size:           4
        .value_kind:     by_value
      - .offset:         12
        .size:           4
        .value_kind:     by_value
      - .address_space:  global
        .offset:         16
        .size:           8
        .value_kind:     global_buffer
      - .offset:         24
        .size:           4
        .value_kind:     by_value
      - .offset:         28
        .size:           4
        .value_kind:     by_value
    .group_segment_fixed_size: 0
    .kernarg_segment_align: 8
    .kernarg_segment_size: 32
    .language:       OpenCL C
    .language_version:
      - 2
      - 0
    .max_flat_workgroup_size: 128
    .name:           _ZN7rocprim17ROCPRIM_304000_NS6detail45device_block_merge_mergepath_partition_kernelINS1_37wrapped_merge_sort_block_merge_configINS0_14default_configEiN2at4cuda3cub6detail10OpaqueTypeILi1EEEEEPijNS1_19radix_merge_compareILb1ELb1EiNS0_19identity_decomposerEEEEEvT0_T1_jPSH_T2_SH_
    .private_segment_fixed_size: 0
    .sgpr_count:     14
    .sgpr_spill_count: 0
    .symbol:         _ZN7rocprim17ROCPRIM_304000_NS6detail45device_block_merge_mergepath_partition_kernelINS1_37wrapped_merge_sort_block_merge_configINS0_14default_configEiN2at4cuda3cub6detail10OpaqueTypeILi1EEEEEPijNS1_19radix_merge_compareILb1ELb1EiNS0_19identity_decomposerEEEEEvT0_T1_jPSH_T2_SH_.kd
    .uniform_work_group_size: 1
    .uses_dynamic_stack: false
    .vgpr_count:     17
    .vgpr_spill_count: 0
    .wavefront_size: 64
  - .agpr_count:     0
    .args:
      - .address_space:  global
        .offset:         0
        .size:           8
        .value_kind:     global_buffer
      - .address_space:  global
        .offset:         8
        .size:           8
        .value_kind:     global_buffer
      - .address_space:  global
        .offset:         16
        .size:           8
        .value_kind:     global_buffer
      - .address_space:  global
        .offset:         24
        .size:           8
        .value_kind:     global_buffer
      - .offset:         32
        .size:           4
        .value_kind:     by_value
      - .offset:         36
        .size:           4
        .value_kind:     by_value
      - .offset:         40
        .size:           4
        .value_kind:     by_value
      - .offset:         44
        .size:           4
        .value_kind:     by_value
      - .address_space:  global
        .offset:         48
        .size:           8
        .value_kind:     global_buffer
      - .address_space:  global
        .offset:         56
        .size:           8
        .value_kind:     global_buffer
      - .offset:         64
        .size:           4
        .value_kind:     hidden_block_count_x
      - .offset:         68
        .size:           4
        .value_kind:     hidden_block_count_y
      - .offset:         72
        .size:           4
        .value_kind:     hidden_block_count_z
      - .offset:         76
        .size:           2
        .value_kind:     hidden_group_size_x
      - .offset:         78
        .size:           2
        .value_kind:     hidden_group_size_y
      - .offset:         80
        .size:           2
        .value_kind:     hidden_group_size_z
      - .offset:         82
        .size:           2
        .value_kind:     hidden_remainder_x
      - .offset:         84
        .size:           2
        .value_kind:     hidden_remainder_y
      - .offset:         86
        .size:           2
        .value_kind:     hidden_remainder_z
      - .offset:         104
        .size:           8
        .value_kind:     hidden_global_offset_x
      - .offset:         112
        .size:           8
        .value_kind:     hidden_global_offset_y
      - .offset:         120
        .size:           8
        .value_kind:     hidden_global_offset_z
      - .offset:         128
        .size:           2
        .value_kind:     hidden_grid_dims
    .group_segment_fixed_size: 4224
    .kernarg_segment_align: 8
    .kernarg_segment_size: 320
    .language:       OpenCL C
    .language_version:
      - 2
      - 0
    .max_flat_workgroup_size: 128
    .name:           _ZN7rocprim17ROCPRIM_304000_NS6detail35device_block_merge_mergepath_kernelINS1_37wrapped_merge_sort_block_merge_configINS0_14default_configEiN2at4cuda3cub6detail10OpaqueTypeILi1EEEEEPiSC_PSA_SD_jNS1_19radix_merge_compareILb1ELb1EiNS0_19identity_decomposerEEEEEvT0_T1_T2_T3_T4_SL_jT5_PKSL_NS1_7vsmem_tE
    .private_segment_fixed_size: 0
    .sgpr_count:     41
    .sgpr_spill_count: 0
    .symbol:         _ZN7rocprim17ROCPRIM_304000_NS6detail35device_block_merge_mergepath_kernelINS1_37wrapped_merge_sort_block_merge_configINS0_14default_configEiN2at4cuda3cub6detail10OpaqueTypeILi1EEEEEPiSC_PSA_SD_jNS1_19radix_merge_compareILb1ELb1EiNS0_19identity_decomposerEEEEEvT0_T1_T2_T3_T4_SL_jT5_PKSL_NS1_7vsmem_tE.kd
    .uniform_work_group_size: 1
    .uses_dynamic_stack: false
    .vgpr_count:     35
    .vgpr_spill_count: 0
    .wavefront_size: 64
  - .agpr_count:     0
    .args:
      - .address_space:  global
        .offset:         0
        .size:           8
        .value_kind:     global_buffer
      - .address_space:  global
        .offset:         8
        .size:           8
        .value_kind:     global_buffer
      - .address_space:  global
        .offset:         16
        .size:           8
        .value_kind:     global_buffer
      - .address_space:  global
        .offset:         24
        .size:           8
        .value_kind:     global_buffer
      - .offset:         32
        .size:           4
        .value_kind:     by_value
      - .offset:         36
        .size:           4
        .value_kind:     by_value
      - .offset:         40
        .size:           4
        .value_kind:     by_value
    .group_segment_fixed_size: 0
    .kernarg_segment_align: 8
    .kernarg_segment_size: 44
    .language:       OpenCL C
    .language_version:
      - 2
      - 0
    .max_flat_workgroup_size: 256
    .name:           _ZN7rocprim17ROCPRIM_304000_NS6detail33device_block_merge_oddeven_kernelINS1_37wrapped_merge_sort_block_merge_configINS0_14default_configEiN2at4cuda3cub6detail10OpaqueTypeILi1EEEEEPiSC_PSA_SD_jNS1_19radix_merge_compareILb1ELb1EiNS0_19identity_decomposerEEEEEvT0_T1_T2_T3_T4_SL_T5_
    .private_segment_fixed_size: 0
    .sgpr_count:     29
    .sgpr_spill_count: 0
    .symbol:         _ZN7rocprim17ROCPRIM_304000_NS6detail33device_block_merge_oddeven_kernelINS1_37wrapped_merge_sort_block_merge_configINS0_14default_configEiN2at4cuda3cub6detail10OpaqueTypeILi1EEEEEPiSC_PSA_SD_jNS1_19radix_merge_compareILb1ELb1EiNS0_19identity_decomposerEEEEEvT0_T1_T2_T3_T4_SL_T5_.kd
    .uniform_work_group_size: 1
    .uses_dynamic_stack: false
    .vgpr_count:     11
    .vgpr_spill_count: 0
    .wavefront_size: 64
  - .agpr_count:     0
    .args:
      - .address_space:  global
        .offset:         0
        .size:           8
        .value_kind:     global_buffer
      - .address_space:  global
        .offset:         8
        .size:           8
        .value_kind:     global_buffer
      - .offset:         16
        .size:           8
        .value_kind:     by_value
      - .offset:         24
        .size:           8
        .value_kind:     by_value
      - .offset:         32
        .size:           1
        .value_kind:     by_value
      - .offset:         36
        .size:           4
        .value_kind:     by_value
      - .offset:         40
        .size:           4
        .value_kind:     by_value
    .group_segment_fixed_size: 16384
    .kernarg_segment_align: 8
    .kernarg_segment_size: 44
    .language:       OpenCL C
    .language_version:
      - 2
      - 0
    .max_flat_workgroup_size: 1024
    .name:           _ZN7rocprim17ROCPRIM_304000_NS6detail26onesweep_histograms_kernelINS1_34wrapped_radix_sort_onesweep_configINS0_14default_configEiN2at4cuda3cub6detail10OpaqueTypeILi1EEEEELb1EPKimNS0_19identity_decomposerEEEvT1_PT2_SG_SG_T3_jj
    .private_segment_fixed_size: 0
    .sgpr_count:     85
    .sgpr_spill_count: 0
    .symbol:         _ZN7rocprim17ROCPRIM_304000_NS6detail26onesweep_histograms_kernelINS1_34wrapped_radix_sort_onesweep_configINS0_14default_configEiN2at4cuda3cub6detail10OpaqueTypeILi1EEEEELb1EPKimNS0_19identity_decomposerEEEvT1_PT2_SG_SG_T3_jj.kd
    .uniform_work_group_size: 1
    .uses_dynamic_stack: false
    .vgpr_count:     52
    .vgpr_spill_count: 0
    .wavefront_size: 64
  - .agpr_count:     0
    .args:
      - .address_space:  global
        .offset:         0
        .size:           8
        .value_kind:     global_buffer
    .group_segment_fixed_size: 128
    .kernarg_segment_align: 8
    .kernarg_segment_size: 8
    .language:       OpenCL C
    .language_version:
      - 2
      - 0
    .max_flat_workgroup_size: 1024
    .name:           _ZN7rocprim17ROCPRIM_304000_NS6detail31onesweep_scan_histograms_kernelINS1_34wrapped_radix_sort_onesweep_configINS0_14default_configEiN2at4cuda3cub6detail10OpaqueTypeILi1EEEEEmEEvPT0_
    .private_segment_fixed_size: 0
    .sgpr_count:     24
    .sgpr_spill_count: 0
    .symbol:         _ZN7rocprim17ROCPRIM_304000_NS6detail31onesweep_scan_histograms_kernelINS1_34wrapped_radix_sort_onesweep_configINS0_14default_configEiN2at4cuda3cub6detail10OpaqueTypeILi1EEEEEmEEvPT0_.kd
    .uniform_work_group_size: 1
    .uses_dynamic_stack: false
    .vgpr_count:     16
    .vgpr_spill_count: 0
    .wavefront_size: 64
  - .agpr_count:     0
    .args:
      - .address_space:  global
        .offset:         0
        .size:           8
        .value_kind:     global_buffer
      - .offset:         8
        .size:           8
        .value_kind:     by_value
      - .address_space:  global
        .offset:         16
        .size:           8
        .value_kind:     global_buffer
      - .offset:         24
        .size:           1
        .value_kind:     by_value
      - .offset:         32
        .size:           4
        .value_kind:     hidden_block_count_x
      - .offset:         36
        .size:           4
        .value_kind:     hidden_block_count_y
      - .offset:         40
        .size:           4
        .value_kind:     hidden_block_count_z
      - .offset:         44
        .size:           2
        .value_kind:     hidden_group_size_x
      - .offset:         46
        .size:           2
        .value_kind:     hidden_group_size_y
      - .offset:         48
        .size:           2
        .value_kind:     hidden_group_size_z
      - .offset:         50
        .size:           2
        .value_kind:     hidden_remainder_x
      - .offset:         52
        .size:           2
        .value_kind:     hidden_remainder_y
      - .offset:         54
        .size:           2
        .value_kind:     hidden_remainder_z
      - .offset:         72
        .size:           8
        .value_kind:     hidden_global_offset_x
      - .offset:         80
        .size:           8
        .value_kind:     hidden_global_offset_y
      - .offset:         88
        .size:           8
        .value_kind:     hidden_global_offset_z
      - .offset:         96
        .size:           2
        .value_kind:     hidden_grid_dims
    .group_segment_fixed_size: 0
    .kernarg_segment_align: 8
    .kernarg_segment_size: 288
    .language:       OpenCL C
    .language_version:
      - 2
      - 0
    .max_flat_workgroup_size: 256
    .name:           _ZN7rocprim17ROCPRIM_304000_NS6detail16transform_kernelINS1_24wrapped_transform_configINS0_14default_configEiEEiPKiPiNS0_8identityIiEEEEvT1_mT2_T3_
    .private_segment_fixed_size: 0
    .sgpr_count:     20
    .sgpr_spill_count: 0
    .symbol:         _ZN7rocprim17ROCPRIM_304000_NS6detail16transform_kernelINS1_24wrapped_transform_configINS0_14default_configEiEEiPKiPiNS0_8identityIiEEEEvT1_mT2_T3_.kd
    .uniform_work_group_size: 1
    .uses_dynamic_stack: false
    .vgpr_count:     10
    .vgpr_spill_count: 0
    .wavefront_size: 64
  - .agpr_count:     0
    .args:
      - .address_space:  global
        .offset:         0
        .size:           8
        .value_kind:     global_buffer
      - .offset:         8
        .size:           8
        .value_kind:     by_value
      - .address_space:  global
        .offset:         16
        .size:           8
        .value_kind:     global_buffer
      - .offset:         24
        .size:           1
        .value_kind:     by_value
      - .offset:         32
        .size:           4
        .value_kind:     hidden_block_count_x
      - .offset:         36
        .size:           4
        .value_kind:     hidden_block_count_y
      - .offset:         40
        .size:           4
        .value_kind:     hidden_block_count_z
      - .offset:         44
        .size:           2
        .value_kind:     hidden_group_size_x
      - .offset:         46
        .size:           2
        .value_kind:     hidden_group_size_y
      - .offset:         48
        .size:           2
        .value_kind:     hidden_group_size_z
      - .offset:         50
        .size:           2
        .value_kind:     hidden_remainder_x
      - .offset:         52
        .size:           2
        .value_kind:     hidden_remainder_y
      - .offset:         54
        .size:           2
        .value_kind:     hidden_remainder_z
      - .offset:         72
        .size:           8
        .value_kind:     hidden_global_offset_x
      - .offset:         80
        .size:           8
        .value_kind:     hidden_global_offset_y
      - .offset:         88
        .size:           8
        .value_kind:     hidden_global_offset_z
      - .offset:         96
        .size:           2
        .value_kind:     hidden_grid_dims
    .group_segment_fixed_size: 0
    .kernarg_segment_align: 8
    .kernarg_segment_size: 288
    .language:       OpenCL C
    .language_version:
      - 2
      - 0
    .max_flat_workgroup_size: 256
    .name:           _ZN7rocprim17ROCPRIM_304000_NS6detail16transform_kernelINS1_24wrapped_transform_configINS0_14default_configEN2at4cuda3cub6detail10OpaqueTypeILi1EEEEESA_PKSA_PSA_NS0_8identityISA_EEEEvT1_mT2_T3_
    .private_segment_fixed_size: 0
    .sgpr_count:     42
    .sgpr_spill_count: 0
    .symbol:         _ZN7rocprim17ROCPRIM_304000_NS6detail16transform_kernelINS1_24wrapped_transform_configINS0_14default_configEN2at4cuda3cub6detail10OpaqueTypeILi1EEEEESA_PKSA_PSA_NS0_8identityISA_EEEEvT1_mT2_T3_.kd
    .uniform_work_group_size: 1
    .uses_dynamic_stack: false
    .vgpr_count:     22
    .vgpr_spill_count: 0
    .wavefront_size: 64
  - .agpr_count:     0
    .args:
      - .address_space:  global
        .offset:         0
        .size:           8
        .value_kind:     global_buffer
      - .address_space:  global
        .offset:         8
        .size:           8
        .value_kind:     global_buffer
      - .address_space:  global
        .offset:         16
        .size:           8
        .value_kind:     global_buffer
      - .address_space:  global
        .offset:         24
        .size:           8
        .value_kind:     global_buffer
      - .offset:         32
        .size:           4
        .value_kind:     by_value
      - .address_space:  global
        .offset:         40
        .size:           8
        .value_kind:     global_buffer
      - .address_space:  global
        .offset:         48
        .size:           8
        .value_kind:     global_buffer
      - .address_space:  global
        .offset:         56
        .size:           8
        .value_kind:     global_buffer
      - .offset:         64
        .size:           1
        .value_kind:     by_value
      - .offset:         68
        .size:           4
        .value_kind:     by_value
      - .offset:         72
        .size:           4
        .value_kind:     by_value
      - .offset:         76
        .size:           4
        .value_kind:     by_value
      - .offset:         80
        .size:           4
        .value_kind:     hidden_block_count_x
      - .offset:         84
        .size:           4
        .value_kind:     hidden_block_count_y
      - .offset:         88
        .size:           4
        .value_kind:     hidden_block_count_z
      - .offset:         92
        .size:           2
        .value_kind:     hidden_group_size_x
      - .offset:         94
        .size:           2
        .value_kind:     hidden_group_size_y
      - .offset:         96
        .size:           2
        .value_kind:     hidden_group_size_z
      - .offset:         98
        .size:           2
        .value_kind:     hidden_remainder_x
      - .offset:         100
        .size:           2
        .value_kind:     hidden_remainder_y
      - .offset:         102
        .size:           2
        .value_kind:     hidden_remainder_z
      - .offset:         120
        .size:           8
        .value_kind:     hidden_global_offset_x
      - .offset:         128
        .size:           8
        .value_kind:     hidden_global_offset_y
      - .offset:         136
        .size:           8
        .value_kind:     hidden_global_offset_z
      - .offset:         144
        .size:           2
        .value_kind:     hidden_grid_dims
    .group_segment_fixed_size: 51200
    .kernarg_segment_align: 8
    .kernarg_segment_size: 336
    .language:       OpenCL C
    .language_version:
      - 2
      - 0
    .max_flat_workgroup_size: 1024
    .name:           _ZN7rocprim17ROCPRIM_304000_NS6detail25onesweep_iteration_kernelINS1_34wrapped_radix_sort_onesweep_configINS0_14default_configEiN2at4cuda3cub6detail10OpaqueTypeILi1EEEEELb1EPKiPiPKSA_PSA_mNS0_19identity_decomposerEEEvT1_T2_T3_T4_jPT5_SO_PNS1_23onesweep_lookback_stateET6_jjj
    .private_segment_fixed_size: 0
    .sgpr_count:     80
    .sgpr_spill_count: 0
    .symbol:         _ZN7rocprim17ROCPRIM_304000_NS6detail25onesweep_iteration_kernelINS1_34wrapped_radix_sort_onesweep_configINS0_14default_configEiN2at4cuda3cub6detail10OpaqueTypeILi1EEEEELb1EPKiPiPKSA_PSA_mNS0_19identity_decomposerEEEvT1_T2_T3_T4_jPT5_SO_PNS1_23onesweep_lookback_stateET6_jjj.kd
    .uniform_work_group_size: 1
    .uses_dynamic_stack: false
    .vgpr_count:     64
    .vgpr_spill_count: 0
    .wavefront_size: 64
  - .agpr_count:     0
    .args:
      - .address_space:  global
        .offset:         0
        .size:           8
        .value_kind:     global_buffer
      - .address_space:  global
        .offset:         8
        .size:           8
        .value_kind:     global_buffer
      - .address_space:  global
        .offset:         16
        .size:           8
        .value_kind:     global_buffer
      - .address_space:  global
        .offset:         24
        .size:           8
        .value_kind:     global_buffer
      - .offset:         32
        .size:           4
        .value_kind:     by_value
      - .address_space:  global
        .offset:         40
        .size:           8
        .value_kind:     global_buffer
      - .address_space:  global
        .offset:         48
        .size:           8
        .value_kind:     global_buffer
      - .address_space:  global
        .offset:         56
        .size:           8
        .value_kind:     global_buffer
      - .offset:         64
        .size:           1
        .value_kind:     by_value
      - .offset:         68
        .size:           4
        .value_kind:     by_value
      - .offset:         72
        .size:           4
        .value_kind:     by_value
      - .offset:         76
        .size:           4
        .value_kind:     by_value
      - .offset:         80
        .size:           4
        .value_kind:     hidden_block_count_x
      - .offset:         84
        .size:           4
        .value_kind:     hidden_block_count_y
      - .offset:         88
        .size:           4
        .value_kind:     hidden_block_count_z
      - .offset:         92
        .size:           2
        .value_kind:     hidden_group_size_x
      - .offset:         94
        .size:           2
        .value_kind:     hidden_group_size_y
      - .offset:         96
        .size:           2
        .value_kind:     hidden_group_size_z
      - .offset:         98
        .size:           2
        .value_kind:     hidden_remainder_x
      - .offset:         100
        .size:           2
        .value_kind:     hidden_remainder_y
      - .offset:         102
        .size:           2
        .value_kind:     hidden_remainder_z
      - .offset:         120
        .size:           8
        .value_kind:     hidden_global_offset_x
      - .offset:         128
        .size:           8
        .value_kind:     hidden_global_offset_y
      - .offset:         136
        .size:           8
        .value_kind:     hidden_global_offset_z
      - .offset:         144
        .size:           2
        .value_kind:     hidden_grid_dims
    .group_segment_fixed_size: 51200
    .kernarg_segment_align: 8
    .kernarg_segment_size: 336
    .language:       OpenCL C
    .language_version:
      - 2
      - 0
    .max_flat_workgroup_size: 1024
    .name:           _ZN7rocprim17ROCPRIM_304000_NS6detail25onesweep_iteration_kernelINS1_34wrapped_radix_sort_onesweep_configINS0_14default_configEiN2at4cuda3cub6detail10OpaqueTypeILi1EEEEELb1EPiSC_PSA_SD_mNS0_19identity_decomposerEEEvT1_T2_T3_T4_jPT5_SK_PNS1_23onesweep_lookback_stateET6_jjj
    .private_segment_fixed_size: 0
    .sgpr_count:     80
    .sgpr_spill_count: 0
    .symbol:         _ZN7rocprim17ROCPRIM_304000_NS6detail25onesweep_iteration_kernelINS1_34wrapped_radix_sort_onesweep_configINS0_14default_configEiN2at4cuda3cub6detail10OpaqueTypeILi1EEEEELb1EPiSC_PSA_SD_mNS0_19identity_decomposerEEEvT1_T2_T3_T4_jPT5_SK_PNS1_23onesweep_lookback_stateET6_jjj.kd
    .uniform_work_group_size: 1
    .uses_dynamic_stack: false
    .vgpr_count:     64
    .vgpr_spill_count: 0
    .wavefront_size: 64
  - .agpr_count:     0
    .args:
      - .address_space:  global
        .offset:         0
        .size:           8
        .value_kind:     global_buffer
      - .address_space:  global
        .offset:         8
        .size:           8
        .value_kind:     global_buffer
      - .address_space:  global
        .offset:         16
        .size:           8
        .value_kind:     global_buffer
      - .address_space:  global
        .offset:         24
        .size:           8
        .value_kind:     global_buffer
      - .offset:         32
        .size:           4
        .value_kind:     by_value
      - .offset:         36
        .size:           1
        .value_kind:     by_value
      - .offset:         40
        .size:           4
        .value_kind:     by_value
      - .offset:         44
        .size:           4
        .value_kind:     by_value
      - .offset:         48
        .size:           4
        .value_kind:     hidden_block_count_x
      - .offset:         52
        .size:           4
        .value_kind:     hidden_block_count_y
      - .offset:         56
        .size:           4
        .value_kind:     hidden_block_count_z
      - .offset:         60
        .size:           2
        .value_kind:     hidden_group_size_x
      - .offset:         62
        .size:           2
        .value_kind:     hidden_group_size_y
      - .offset:         64
        .size:           2
        .value_kind:     hidden_group_size_z
      - .offset:         66
        .size:           2
        .value_kind:     hidden_remainder_x
      - .offset:         68
        .size:           2
        .value_kind:     hidden_remainder_y
      - .offset:         70
        .size:           2
        .value_kind:     hidden_remainder_z
      - .offset:         88
        .size:           8
        .value_kind:     hidden_global_offset_x
      - .offset:         96
        .size:           8
        .value_kind:     hidden_global_offset_y
      - .offset:         104
        .size:           8
        .value_kind:     hidden_global_offset_z
      - .offset:         112
        .size:           2
        .value_kind:     hidden_grid_dims
    .group_segment_fixed_size: 4112
    .kernarg_segment_align: 8
    .kernarg_segment_size: 304
    .language:       OpenCL C
    .language_version:
      - 2
      - 0
    .max_flat_workgroup_size: 256
    .name:           _ZN7rocprim17ROCPRIM_304000_NS6detail28radix_sort_block_sort_kernelINS1_36wrapped_radix_sort_block_sort_configINS0_13kernel_configILj256ELj4ELj4294967295EEEiN2at4cuda3cub6detail10OpaqueTypeILi1EEEEELb0EPKiPiPKSB_PSB_NS0_19identity_decomposerEEEvT1_T2_T3_T4_jT5_jj
    .private_segment_fixed_size: 0
    .sgpr_count:     52
    .sgpr_spill_count: 0
    .symbol:         _ZN7rocprim17ROCPRIM_304000_NS6detail28radix_sort_block_sort_kernelINS1_36wrapped_radix_sort_block_sort_configINS0_13kernel_configILj256ELj4ELj4294967295EEEiN2at4cuda3cub6detail10OpaqueTypeILi1EEEEELb0EPKiPiPKSB_PSB_NS0_19identity_decomposerEEEvT1_T2_T3_T4_jT5_jj.kd
    .uniform_work_group_size: 1
    .uses_dynamic_stack: false
    .vgpr_count:     47
    .vgpr_spill_count: 0
    .wavefront_size: 64
  - .agpr_count:     0
    .args:
      - .address_space:  global
        .offset:         0
        .size:           8
        .value_kind:     global_buffer
      - .offset:         8
        .size:           4
        .value_kind:     by_value
      - .offset:         12
        .size:           4
        .value_kind:     by_value
      - .address_space:  global
        .offset:         16
        .size:           8
        .value_kind:     global_buffer
      - .offset:         24
        .size:           1
        .value_kind:     by_value
      - .offset:         28
        .size:           4
        .value_kind:     by_value
    .group_segment_fixed_size: 0
    .kernarg_segment_align: 8
    .kernarg_segment_size: 32
    .language:       OpenCL C
    .language_version:
      - 2
      - 0
    .max_flat_workgroup_size: 128
    .name:           _ZN7rocprim17ROCPRIM_304000_NS6detail45device_block_merge_mergepath_partition_kernelINS1_37wrapped_merge_sort_block_merge_configINS0_14default_configEiN2at4cuda3cub6detail10OpaqueTypeILi1EEEEEPijNS1_19radix_merge_compareILb0ELb0EiNS0_19identity_decomposerEEEEEvT0_T1_jPSH_T2_SH_
    .private_segment_fixed_size: 0
    .sgpr_count:     12
    .sgpr_spill_count: 0
    .symbol:         _ZN7rocprim17ROCPRIM_304000_NS6detail45device_block_merge_mergepath_partition_kernelINS1_37wrapped_merge_sort_block_merge_configINS0_14default_configEiN2at4cuda3cub6detail10OpaqueTypeILi1EEEEEPijNS1_19radix_merge_compareILb0ELb0EiNS0_19identity_decomposerEEEEEvT0_T1_jPSH_T2_SH_.kd
    .uniform_work_group_size: 1
    .uses_dynamic_stack: false
    .vgpr_count:     17
    .vgpr_spill_count: 0
    .wavefront_size: 64
  - .agpr_count:     0
    .args:
      - .address_space:  global
        .offset:         0
        .size:           8
        .value_kind:     global_buffer
      - .address_space:  global
        .offset:         8
        .size:           8
        .value_kind:     global_buffer
      - .address_space:  global
        .offset:         16
        .size:           8
        .value_kind:     global_buffer
      - .address_space:  global
        .offset:         24
        .size:           8
        .value_kind:     global_buffer
      - .offset:         32
        .size:           4
        .value_kind:     by_value
      - .offset:         36
        .size:           4
        .value_kind:     by_value
      - .offset:         40
        .size:           4
        .value_kind:     by_value
      - .offset:         44
        .size:           1
        .value_kind:     by_value
      - .address_space:  global
        .offset:         48
        .size:           8
        .value_kind:     global_buffer
      - .address_space:  global
        .offset:         56
        .size:           8
        .value_kind:     global_buffer
      - .offset:         64
        .size:           4
        .value_kind:     hidden_block_count_x
      - .offset:         68
        .size:           4
        .value_kind:     hidden_block_count_y
      - .offset:         72
        .size:           4
        .value_kind:     hidden_block_count_z
      - .offset:         76
        .size:           2
        .value_kind:     hidden_group_size_x
      - .offset:         78
        .size:           2
        .value_kind:     hidden_group_size_y
      - .offset:         80
        .size:           2
        .value_kind:     hidden_group_size_z
      - .offset:         82
        .size:           2
        .value_kind:     hidden_remainder_x
      - .offset:         84
        .size:           2
        .value_kind:     hidden_remainder_y
      - .offset:         86
        .size:           2
        .value_kind:     hidden_remainder_z
      - .offset:         104
        .size:           8
        .value_kind:     hidden_global_offset_x
      - .offset:         112
        .size:           8
        .value_kind:     hidden_global_offset_y
      - .offset:         120
        .size:           8
        .value_kind:     hidden_global_offset_z
      - .offset:         128
        .size:           2
        .value_kind:     hidden_grid_dims
    .group_segment_fixed_size: 4224
    .kernarg_segment_align: 8
    .kernarg_segment_size: 320
    .language:       OpenCL C
    .language_version:
      - 2
      - 0
    .max_flat_workgroup_size: 128
    .name:           _ZN7rocprim17ROCPRIM_304000_NS6detail35device_block_merge_mergepath_kernelINS1_37wrapped_merge_sort_block_merge_configINS0_14default_configEiN2at4cuda3cub6detail10OpaqueTypeILi1EEEEEPiSC_PSA_SD_jNS1_19radix_merge_compareILb0ELb0EiNS0_19identity_decomposerEEEEEvT0_T1_T2_T3_T4_SL_jT5_PKSL_NS1_7vsmem_tE
    .private_segment_fixed_size: 0
    .sgpr_count:     40
    .sgpr_spill_count: 0
    .symbol:         _ZN7rocprim17ROCPRIM_304000_NS6detail35device_block_merge_mergepath_kernelINS1_37wrapped_merge_sort_block_merge_configINS0_14default_configEiN2at4cuda3cub6detail10OpaqueTypeILi1EEEEEPiSC_PSA_SD_jNS1_19radix_merge_compareILb0ELb0EiNS0_19identity_decomposerEEEEEvT0_T1_T2_T3_T4_SL_jT5_PKSL_NS1_7vsmem_tE.kd
    .uniform_work_group_size: 1
    .uses_dynamic_stack: false
    .vgpr_count:     35
    .vgpr_spill_count: 0
    .wavefront_size: 64
  - .agpr_count:     0
    .args:
      - .address_space:  global
        .offset:         0
        .size:           8
        .value_kind:     global_buffer
      - .address_space:  global
        .offset:         8
        .size:           8
        .value_kind:     global_buffer
      - .address_space:  global
        .offset:         16
        .size:           8
        .value_kind:     global_buffer
      - .address_space:  global
        .offset:         24
        .size:           8
        .value_kind:     global_buffer
      - .offset:         32
        .size:           4
        .value_kind:     by_value
      - .offset:         36
        .size:           4
        .value_kind:     by_value
      - .offset:         40
        .size:           1
        .value_kind:     by_value
    .group_segment_fixed_size: 0
    .kernarg_segment_align: 8
    .kernarg_segment_size: 44
    .language:       OpenCL C
    .language_version:
      - 2
      - 0
    .max_flat_workgroup_size: 256
    .name:           _ZN7rocprim17ROCPRIM_304000_NS6detail33device_block_merge_oddeven_kernelINS1_37wrapped_merge_sort_block_merge_configINS0_14default_configEiN2at4cuda3cub6detail10OpaqueTypeILi1EEEEEPiSC_PSA_SD_jNS1_19radix_merge_compareILb0ELb0EiNS0_19identity_decomposerEEEEEvT0_T1_T2_T3_T4_SL_T5_
    .private_segment_fixed_size: 0
    .sgpr_count:     28
    .sgpr_spill_count: 0
    .symbol:         _ZN7rocprim17ROCPRIM_304000_NS6detail33device_block_merge_oddeven_kernelINS1_37wrapped_merge_sort_block_merge_configINS0_14default_configEiN2at4cuda3cub6detail10OpaqueTypeILi1EEEEEPiSC_PSA_SD_jNS1_19radix_merge_compareILb0ELb0EiNS0_19identity_decomposerEEEEEvT0_T1_T2_T3_T4_SL_T5_.kd
    .uniform_work_group_size: 1
    .uses_dynamic_stack: false
    .vgpr_count:     10
    .vgpr_spill_count: 0
    .wavefront_size: 64
  - .agpr_count:     0
    .args:
      - .address_space:  global
        .offset:         0
        .size:           8
        .value_kind:     global_buffer
      - .offset:         8
        .size:           4
        .value_kind:     by_value
      - .offset:         12
        .size:           4
        .value_kind:     by_value
      - .address_space:  global
        .offset:         16
        .size:           8
        .value_kind:     global_buffer
      - .offset:         24
        .size:           4
        .value_kind:     by_value
      - .offset:         28
        .size:           4
        .value_kind:     by_value
    .group_segment_fixed_size: 0
    .kernarg_segment_align: 8
    .kernarg_segment_size: 32
    .language:       OpenCL C
    .language_version:
      - 2
      - 0
    .max_flat_workgroup_size: 128
    .name:           _ZN7rocprim17ROCPRIM_304000_NS6detail45device_block_merge_mergepath_partition_kernelINS1_37wrapped_merge_sort_block_merge_configINS0_14default_configEiN2at4cuda3cub6detail10OpaqueTypeILi1EEEEEPijNS1_19radix_merge_compareILb0ELb1EiNS0_19identity_decomposerEEEEEvT0_T1_jPSH_T2_SH_
    .private_segment_fixed_size: 0
    .sgpr_count:     14
    .sgpr_spill_count: 0
    .symbol:         _ZN7rocprim17ROCPRIM_304000_NS6detail45device_block_merge_mergepath_partition_kernelINS1_37wrapped_merge_sort_block_merge_configINS0_14default_configEiN2at4cuda3cub6detail10OpaqueTypeILi1EEEEEPijNS1_19radix_merge_compareILb0ELb1EiNS0_19identity_decomposerEEEEEvT0_T1_jPSH_T2_SH_.kd
    .uniform_work_group_size: 1
    .uses_dynamic_stack: false
    .vgpr_count:     17
    .vgpr_spill_count: 0
    .wavefront_size: 64
  - .agpr_count:     0
    .args:
      - .address_space:  global
        .offset:         0
        .size:           8
        .value_kind:     global_buffer
      - .address_space:  global
        .offset:         8
        .size:           8
        .value_kind:     global_buffer
      - .address_space:  global
        .offset:         16
        .size:           8
        .value_kind:     global_buffer
      - .address_space:  global
        .offset:         24
        .size:           8
        .value_kind:     global_buffer
      - .offset:         32
        .size:           4
        .value_kind:     by_value
      - .offset:         36
        .size:           4
        .value_kind:     by_value
      - .offset:         40
        .size:           4
        .value_kind:     by_value
      - .offset:         44
        .size:           4
        .value_kind:     by_value
      - .address_space:  global
        .offset:         48
        .size:           8
        .value_kind:     global_buffer
      - .address_space:  global
        .offset:         56
        .size:           8
        .value_kind:     global_buffer
      - .offset:         64
        .size:           4
        .value_kind:     hidden_block_count_x
      - .offset:         68
        .size:           4
        .value_kind:     hidden_block_count_y
      - .offset:         72
        .size:           4
        .value_kind:     hidden_block_count_z
      - .offset:         76
        .size:           2
        .value_kind:     hidden_group_size_x
      - .offset:         78
        .size:           2
        .value_kind:     hidden_group_size_y
      - .offset:         80
        .size:           2
        .value_kind:     hidden_group_size_z
      - .offset:         82
        .size:           2
        .value_kind:     hidden_remainder_x
      - .offset:         84
        .size:           2
        .value_kind:     hidden_remainder_y
      - .offset:         86
        .size:           2
        .value_kind:     hidden_remainder_z
      - .offset:         104
        .size:           8
        .value_kind:     hidden_global_offset_x
      - .offset:         112
        .size:           8
        .value_kind:     hidden_global_offset_y
      - .offset:         120
        .size:           8
        .value_kind:     hidden_global_offset_z
      - .offset:         128
        .size:           2
        .value_kind:     hidden_grid_dims
    .group_segment_fixed_size: 4224
    .kernarg_segment_align: 8
    .kernarg_segment_size: 320
    .language:       OpenCL C
    .language_version:
      - 2
      - 0
    .max_flat_workgroup_size: 128
    .name:           _ZN7rocprim17ROCPRIM_304000_NS6detail35device_block_merge_mergepath_kernelINS1_37wrapped_merge_sort_block_merge_configINS0_14default_configEiN2at4cuda3cub6detail10OpaqueTypeILi1EEEEEPiSC_PSA_SD_jNS1_19radix_merge_compareILb0ELb1EiNS0_19identity_decomposerEEEEEvT0_T1_T2_T3_T4_SL_jT5_PKSL_NS1_7vsmem_tE
    .private_segment_fixed_size: 0
    .sgpr_count:     41
    .sgpr_spill_count: 0
    .symbol:         _ZN7rocprim17ROCPRIM_304000_NS6detail35device_block_merge_mergepath_kernelINS1_37wrapped_merge_sort_block_merge_configINS0_14default_configEiN2at4cuda3cub6detail10OpaqueTypeILi1EEEEEPiSC_PSA_SD_jNS1_19radix_merge_compareILb0ELb1EiNS0_19identity_decomposerEEEEEvT0_T1_T2_T3_T4_SL_jT5_PKSL_NS1_7vsmem_tE.kd
    .uniform_work_group_size: 1
    .uses_dynamic_stack: false
    .vgpr_count:     35
    .vgpr_spill_count: 0
    .wavefront_size: 64
  - .agpr_count:     0
    .args:
      - .address_space:  global
        .offset:         0
        .size:           8
        .value_kind:     global_buffer
      - .address_space:  global
        .offset:         8
        .size:           8
        .value_kind:     global_buffer
      - .address_space:  global
        .offset:         16
        .size:           8
        .value_kind:     global_buffer
      - .address_space:  global
        .offset:         24
        .size:           8
        .value_kind:     global_buffer
      - .offset:         32
        .size:           4
        .value_kind:     by_value
      - .offset:         36
        .size:           4
        .value_kind:     by_value
      - .offset:         40
        .size:           4
        .value_kind:     by_value
    .group_segment_fixed_size: 0
    .kernarg_segment_align: 8
    .kernarg_segment_size: 44
    .language:       OpenCL C
    .language_version:
      - 2
      - 0
    .max_flat_workgroup_size: 256
    .name:           _ZN7rocprim17ROCPRIM_304000_NS6detail33device_block_merge_oddeven_kernelINS1_37wrapped_merge_sort_block_merge_configINS0_14default_configEiN2at4cuda3cub6detail10OpaqueTypeILi1EEEEEPiSC_PSA_SD_jNS1_19radix_merge_compareILb0ELb1EiNS0_19identity_decomposerEEEEEvT0_T1_T2_T3_T4_SL_T5_
    .private_segment_fixed_size: 0
    .sgpr_count:     29
    .sgpr_spill_count: 0
    .symbol:         _ZN7rocprim17ROCPRIM_304000_NS6detail33device_block_merge_oddeven_kernelINS1_37wrapped_merge_sort_block_merge_configINS0_14default_configEiN2at4cuda3cub6detail10OpaqueTypeILi1EEEEEPiSC_PSA_SD_jNS1_19radix_merge_compareILb0ELb1EiNS0_19identity_decomposerEEEEEvT0_T1_T2_T3_T4_SL_T5_.kd
    .uniform_work_group_size: 1
    .uses_dynamic_stack: false
    .vgpr_count:     11
    .vgpr_spill_count: 0
    .wavefront_size: 64
  - .agpr_count:     0
    .args:
      - .address_space:  global
        .offset:         0
        .size:           8
        .value_kind:     global_buffer
      - .address_space:  global
        .offset:         8
        .size:           8
        .value_kind:     global_buffer
      - .offset:         16
        .size:           8
        .value_kind:     by_value
      - .offset:         24
        .size:           8
        .value_kind:     by_value
      - .offset:         32
        .size:           1
        .value_kind:     by_value
      - .offset:         36
        .size:           4
        .value_kind:     by_value
      - .offset:         40
        .size:           4
        .value_kind:     by_value
    .group_segment_fixed_size: 16384
    .kernarg_segment_align: 8
    .kernarg_segment_size: 44
    .language:       OpenCL C
    .language_version:
      - 2
      - 0
    .max_flat_workgroup_size: 1024
    .name:           _ZN7rocprim17ROCPRIM_304000_NS6detail26onesweep_histograms_kernelINS1_34wrapped_radix_sort_onesweep_configINS0_14default_configEiN2at4cuda3cub6detail10OpaqueTypeILi1EEEEELb0EPKimNS0_19identity_decomposerEEEvT1_PT2_SG_SG_T3_jj
    .private_segment_fixed_size: 0
    .sgpr_count:     85
    .sgpr_spill_count: 0
    .symbol:         _ZN7rocprim17ROCPRIM_304000_NS6detail26onesweep_histograms_kernelINS1_34wrapped_radix_sort_onesweep_configINS0_14default_configEiN2at4cuda3cub6detail10OpaqueTypeILi1EEEEELb0EPKimNS0_19identity_decomposerEEEvT1_PT2_SG_SG_T3_jj.kd
    .uniform_work_group_size: 1
    .uses_dynamic_stack: false
    .vgpr_count:     50
    .vgpr_spill_count: 0
    .wavefront_size: 64
  - .agpr_count:     0
    .args:
      - .address_space:  global
        .offset:         0
        .size:           8
        .value_kind:     global_buffer
      - .address_space:  global
        .offset:         8
        .size:           8
        .value_kind:     global_buffer
      - .address_space:  global
        .offset:         16
        .size:           8
        .value_kind:     global_buffer
      - .address_space:  global
        .offset:         24
        .size:           8
        .value_kind:     global_buffer
      - .offset:         32
        .size:           4
        .value_kind:     by_value
      - .address_space:  global
        .offset:         40
        .size:           8
        .value_kind:     global_buffer
      - .address_space:  global
        .offset:         48
        .size:           8
        .value_kind:     global_buffer
      - .address_space:  global
        .offset:         56
        .size:           8
        .value_kind:     global_buffer
      - .offset:         64
        .size:           1
        .value_kind:     by_value
      - .offset:         68
        .size:           4
        .value_kind:     by_value
      - .offset:         72
        .size:           4
        .value_kind:     by_value
      - .offset:         76
        .size:           4
        .value_kind:     by_value
      - .offset:         80
        .size:           4
        .value_kind:     hidden_block_count_x
      - .offset:         84
        .size:           4
        .value_kind:     hidden_block_count_y
      - .offset:         88
        .size:           4
        .value_kind:     hidden_block_count_z
      - .offset:         92
        .size:           2
        .value_kind:     hidden_group_size_x
      - .offset:         94
        .size:           2
        .value_kind:     hidden_group_size_y
      - .offset:         96
        .size:           2
        .value_kind:     hidden_group_size_z
      - .offset:         98
        .size:           2
        .value_kind:     hidden_remainder_x
      - .offset:         100
        .size:           2
        .value_kind:     hidden_remainder_y
      - .offset:         102
        .size:           2
        .value_kind:     hidden_remainder_z
      - .offset:         120
        .size:           8
        .value_kind:     hidden_global_offset_x
      - .offset:         128
        .size:           8
        .value_kind:     hidden_global_offset_y
      - .offset:         136
        .size:           8
        .value_kind:     hidden_global_offset_z
      - .offset:         144
        .size:           2
        .value_kind:     hidden_grid_dims
    .group_segment_fixed_size: 51200
    .kernarg_segment_align: 8
    .kernarg_segment_size: 336
    .language:       OpenCL C
    .language_version:
      - 2
      - 0
    .max_flat_workgroup_size: 1024
    .name:           _ZN7rocprim17ROCPRIM_304000_NS6detail25onesweep_iteration_kernelINS1_34wrapped_radix_sort_onesweep_configINS0_14default_configEiN2at4cuda3cub6detail10OpaqueTypeILi1EEEEELb0EPKiPiPKSA_PSA_mNS0_19identity_decomposerEEEvT1_T2_T3_T4_jPT5_SO_PNS1_23onesweep_lookback_stateET6_jjj
    .private_segment_fixed_size: 0
    .sgpr_count:     80
    .sgpr_spill_count: 0
    .symbol:         _ZN7rocprim17ROCPRIM_304000_NS6detail25onesweep_iteration_kernelINS1_34wrapped_radix_sort_onesweep_configINS0_14default_configEiN2at4cuda3cub6detail10OpaqueTypeILi1EEEEELb0EPKiPiPKSA_PSA_mNS0_19identity_decomposerEEEvT1_T2_T3_T4_jPT5_SO_PNS1_23onesweep_lookback_stateET6_jjj.kd
    .uniform_work_group_size: 1
    .uses_dynamic_stack: false
    .vgpr_count:     64
    .vgpr_spill_count: 0
    .wavefront_size: 64
  - .agpr_count:     0
    .args:
      - .address_space:  global
        .offset:         0
        .size:           8
        .value_kind:     global_buffer
      - .address_space:  global
        .offset:         8
        .size:           8
        .value_kind:     global_buffer
      - .address_space:  global
        .offset:         16
        .size:           8
        .value_kind:     global_buffer
      - .address_space:  global
        .offset:         24
        .size:           8
        .value_kind:     global_buffer
      - .offset:         32
        .size:           4
        .value_kind:     by_value
      - .address_space:  global
        .offset:         40
        .size:           8
        .value_kind:     global_buffer
      - .address_space:  global
        .offset:         48
        .size:           8
        .value_kind:     global_buffer
      - .address_space:  global
        .offset:         56
        .size:           8
        .value_kind:     global_buffer
      - .offset:         64
        .size:           1
        .value_kind:     by_value
      - .offset:         68
        .size:           4
        .value_kind:     by_value
      - .offset:         72
        .size:           4
        .value_kind:     by_value
      - .offset:         76
        .size:           4
        .value_kind:     by_value
      - .offset:         80
        .size:           4
        .value_kind:     hidden_block_count_x
      - .offset:         84
        .size:           4
        .value_kind:     hidden_block_count_y
      - .offset:         88
        .size:           4
        .value_kind:     hidden_block_count_z
      - .offset:         92
        .size:           2
        .value_kind:     hidden_group_size_x
      - .offset:         94
        .size:           2
        .value_kind:     hidden_group_size_y
      - .offset:         96
        .size:           2
        .value_kind:     hidden_group_size_z
      - .offset:         98
        .size:           2
        .value_kind:     hidden_remainder_x
      - .offset:         100
        .size:           2
        .value_kind:     hidden_remainder_y
      - .offset:         102
        .size:           2
        .value_kind:     hidden_remainder_z
      - .offset:         120
        .size:           8
        .value_kind:     hidden_global_offset_x
      - .offset:         128
        .size:           8
        .value_kind:     hidden_global_offset_y
      - .offset:         136
        .size:           8
        .value_kind:     hidden_global_offset_z
      - .offset:         144
        .size:           2
        .value_kind:     hidden_grid_dims
    .group_segment_fixed_size: 51200
    .kernarg_segment_align: 8
    .kernarg_segment_size: 336
    .language:       OpenCL C
    .language_version:
      - 2
      - 0
    .max_flat_workgroup_size: 1024
    .name:           _ZN7rocprim17ROCPRIM_304000_NS6detail25onesweep_iteration_kernelINS1_34wrapped_radix_sort_onesweep_configINS0_14default_configEiN2at4cuda3cub6detail10OpaqueTypeILi1EEEEELb0EPiSC_PSA_SD_mNS0_19identity_decomposerEEEvT1_T2_T3_T4_jPT5_SK_PNS1_23onesweep_lookback_stateET6_jjj
    .private_segment_fixed_size: 0
    .sgpr_count:     80
    .sgpr_spill_count: 0
    .symbol:         _ZN7rocprim17ROCPRIM_304000_NS6detail25onesweep_iteration_kernelINS1_34wrapped_radix_sort_onesweep_configINS0_14default_configEiN2at4cuda3cub6detail10OpaqueTypeILi1EEEEELb0EPiSC_PSA_SD_mNS0_19identity_decomposerEEEvT1_T2_T3_T4_jPT5_SK_PNS1_23onesweep_lookback_stateET6_jjj.kd
    .uniform_work_group_size: 1
    .uses_dynamic_stack: false
    .vgpr_count:     64
    .vgpr_spill_count: 0
    .wavefront_size: 64
amdhsa.target:   amdgcn-amd-amdhsa--gfx942
amdhsa.version:
  - 1
  - 2
...

	.end_amdgpu_metadata
